;; amdgpu-corpus repo=ROCm/rocFFT kind=compiled arch=gfx950 opt=O3
	.text
	.amdgcn_target "amdgcn-amd-amdhsa--gfx950"
	.amdhsa_code_object_version 6
	.protected	fft_rtc_back_len1496_factors_17_8_11_wgs_187_tpt_187_halfLds_sp_ip_CI_unitstride_sbrr_C2R_dirReg ; -- Begin function fft_rtc_back_len1496_factors_17_8_11_wgs_187_tpt_187_halfLds_sp_ip_CI_unitstride_sbrr_C2R_dirReg
	.globl	fft_rtc_back_len1496_factors_17_8_11_wgs_187_tpt_187_halfLds_sp_ip_CI_unitstride_sbrr_C2R_dirReg
	.p2align	8
	.type	fft_rtc_back_len1496_factors_17_8_11_wgs_187_tpt_187_halfLds_sp_ip_CI_unitstride_sbrr_C2R_dirReg,@function
fft_rtc_back_len1496_factors_17_8_11_wgs_187_tpt_187_halfLds_sp_ip_CI_unitstride_sbrr_C2R_dirReg: ; @fft_rtc_back_len1496_factors_17_8_11_wgs_187_tpt_187_halfLds_sp_ip_CI_unitstride_sbrr_C2R_dirReg
; %bb.0:
	s_load_dwordx2 s[8:9], s[0:1], 0x50
	s_load_dwordx4 s[4:7], s[0:1], 0x0
	s_load_dwordx2 s[10:11], s[0:1], 0x18
	v_mul_u32_u24_e32 v1, 0x15f, v0
	v_add_u32_sdwa v6, s2, v1 dst_sel:DWORD dst_unused:UNUSED_PAD src0_sel:DWORD src1_sel:WORD_1
	v_mov_b32_e32 v4, 0
	s_waitcnt lgkmcnt(0)
	v_cmp_lt_u64_e64 s[2:3], s[6:7], 2
	v_mov_b32_e32 v7, v4
	s_and_b64 vcc, exec, s[2:3]
	v_mov_b64_e32 v[2:3], 0
	s_cbranch_vccnz .LBB0_8
; %bb.1:
	s_load_dwordx2 s[2:3], s[0:1], 0x10
	s_add_u32 s12, s10, 8
	s_addc_u32 s13, s11, 0
	s_mov_b64 s[14:15], 1
	v_mov_b64_e32 v[2:3], 0
	s_waitcnt lgkmcnt(0)
	s_add_u32 s16, s2, 8
	s_addc_u32 s17, s3, 0
.LBB0_2:                                ; =>This Inner Loop Header: Depth=1
	s_load_dwordx2 s[18:19], s[16:17], 0x0
                                        ; implicit-def: $vgpr8_vgpr9
	s_waitcnt lgkmcnt(0)
	v_or_b32_e32 v5, s19, v7
	v_cmp_ne_u64_e32 vcc, 0, v[4:5]
	s_and_saveexec_b64 s[2:3], vcc
	s_xor_b64 s[20:21], exec, s[2:3]
	s_cbranch_execz .LBB0_4
; %bb.3:                                ;   in Loop: Header=BB0_2 Depth=1
	v_cvt_f32_u32_e32 v1, s18
	v_cvt_f32_u32_e32 v5, s19
	s_sub_u32 s2, 0, s18
	s_subb_u32 s3, 0, s19
	v_fmac_f32_e32 v1, 0x4f800000, v5
	v_rcp_f32_e32 v1, v1
	s_nop 0
	v_mul_f32_e32 v1, 0x5f7ffffc, v1
	v_mul_f32_e32 v5, 0x2f800000, v1
	v_trunc_f32_e32 v5, v5
	v_fmac_f32_e32 v1, 0xcf800000, v5
	v_cvt_u32_f32_e32 v5, v5
	v_cvt_u32_f32_e32 v1, v1
	v_mul_lo_u32 v8, s2, v5
	v_mul_hi_u32 v10, s2, v1
	v_mul_lo_u32 v9, s3, v1
	v_add_u32_e32 v10, v10, v8
	v_mul_lo_u32 v12, s2, v1
	v_add_u32_e32 v13, v10, v9
	v_mul_hi_u32 v8, v1, v12
	v_mul_hi_u32 v11, v1, v13
	v_mul_lo_u32 v10, v1, v13
	v_mov_b32_e32 v9, v4
	v_lshl_add_u64 v[8:9], v[8:9], 0, v[10:11]
	v_mul_hi_u32 v11, v5, v12
	v_mul_lo_u32 v12, v5, v12
	v_add_co_u32_e32 v8, vcc, v8, v12
	v_mul_hi_u32 v10, v5, v13
	s_nop 0
	v_addc_co_u32_e32 v8, vcc, v9, v11, vcc
	v_mov_b32_e32 v9, v4
	s_nop 0
	v_addc_co_u32_e32 v11, vcc, 0, v10, vcc
	v_mul_lo_u32 v10, v5, v13
	v_lshl_add_u64 v[8:9], v[8:9], 0, v[10:11]
	v_add_co_u32_e32 v1, vcc, v1, v8
	v_mul_lo_u32 v10, s2, v1
	s_nop 0
	v_addc_co_u32_e32 v5, vcc, v5, v9, vcc
	v_mul_lo_u32 v8, s2, v5
	v_mul_hi_u32 v9, s2, v1
	v_add_u32_e32 v8, v9, v8
	v_mul_lo_u32 v9, s3, v1
	v_add_u32_e32 v12, v8, v9
	v_mul_hi_u32 v14, v5, v10
	v_mul_lo_u32 v15, v5, v10
	v_mul_hi_u32 v9, v1, v12
	v_mul_lo_u32 v8, v1, v12
	v_mul_hi_u32 v10, v1, v10
	v_mov_b32_e32 v11, v4
	v_lshl_add_u64 v[8:9], v[10:11], 0, v[8:9]
	v_add_co_u32_e32 v8, vcc, v8, v15
	v_mul_hi_u32 v13, v5, v12
	s_nop 0
	v_addc_co_u32_e32 v8, vcc, v9, v14, vcc
	v_mul_lo_u32 v10, v5, v12
	s_nop 0
	v_addc_co_u32_e32 v11, vcc, 0, v13, vcc
	v_mov_b32_e32 v9, v4
	v_lshl_add_u64 v[8:9], v[8:9], 0, v[10:11]
	v_add_co_u32_e32 v1, vcc, v1, v8
	v_mul_hi_u32 v10, v6, v1
	s_nop 0
	v_addc_co_u32_e32 v5, vcc, v5, v9, vcc
	v_mad_u64_u32 v[8:9], s[2:3], v6, v5, 0
	v_mov_b32_e32 v11, v4
	v_lshl_add_u64 v[8:9], v[10:11], 0, v[8:9]
	v_mad_u64_u32 v[12:13], s[2:3], v7, v1, 0
	v_add_co_u32_e32 v1, vcc, v8, v12
	v_mad_u64_u32 v[10:11], s[2:3], v7, v5, 0
	s_nop 0
	v_addc_co_u32_e32 v8, vcc, v9, v13, vcc
	v_mov_b32_e32 v9, v4
	s_nop 0
	v_addc_co_u32_e32 v11, vcc, 0, v11, vcc
	v_lshl_add_u64 v[8:9], v[8:9], 0, v[10:11]
	v_mul_lo_u32 v1, s19, v8
	v_mul_lo_u32 v5, s18, v9
	v_mad_u64_u32 v[10:11], s[2:3], s18, v8, 0
	v_add3_u32 v1, v11, v5, v1
	v_sub_u32_e32 v5, v7, v1
	v_mov_b32_e32 v11, s19
	v_sub_co_u32_e32 v14, vcc, v6, v10
	v_lshl_add_u64 v[12:13], v[8:9], 0, 1
	s_nop 0
	v_subb_co_u32_e64 v5, s[2:3], v5, v11, vcc
	v_subrev_co_u32_e64 v10, s[2:3], s18, v14
	v_subb_co_u32_e32 v1, vcc, v7, v1, vcc
	s_nop 0
	v_subbrev_co_u32_e64 v5, s[2:3], 0, v5, s[2:3]
	v_cmp_le_u32_e64 s[2:3], s19, v5
	v_cmp_le_u32_e32 vcc, s19, v1
	s_nop 0
	v_cndmask_b32_e64 v11, 0, -1, s[2:3]
	v_cmp_le_u32_e64 s[2:3], s18, v10
	s_nop 1
	v_cndmask_b32_e64 v10, 0, -1, s[2:3]
	v_cmp_eq_u32_e64 s[2:3], s19, v5
	s_nop 1
	v_cndmask_b32_e64 v5, v11, v10, s[2:3]
	v_lshl_add_u64 v[10:11], v[8:9], 0, 2
	v_cmp_ne_u32_e64 s[2:3], 0, v5
	s_nop 1
	v_cndmask_b32_e64 v5, v13, v11, s[2:3]
	v_cndmask_b32_e64 v11, 0, -1, vcc
	v_cmp_le_u32_e32 vcc, s18, v14
	s_nop 1
	v_cndmask_b32_e64 v13, 0, -1, vcc
	v_cmp_eq_u32_e32 vcc, s19, v1
	s_nop 1
	v_cndmask_b32_e32 v1, v11, v13, vcc
	v_cmp_ne_u32_e32 vcc, 0, v1
	v_cndmask_b32_e64 v1, v12, v10, s[2:3]
	s_nop 0
	v_cndmask_b32_e32 v9, v9, v5, vcc
	v_cndmask_b32_e32 v8, v8, v1, vcc
.LBB0_4:                                ;   in Loop: Header=BB0_2 Depth=1
	s_andn2_saveexec_b64 s[2:3], s[20:21]
	s_cbranch_execz .LBB0_6
; %bb.5:                                ;   in Loop: Header=BB0_2 Depth=1
	v_cvt_f32_u32_e32 v1, s18
	s_sub_i32 s20, 0, s18
	v_rcp_iflag_f32_e32 v1, v1
	s_nop 0
	v_mul_f32_e32 v1, 0x4f7ffffe, v1
	v_cvt_u32_f32_e32 v1, v1
	v_mul_lo_u32 v5, s20, v1
	v_mul_hi_u32 v5, v1, v5
	v_add_u32_e32 v1, v1, v5
	v_mul_hi_u32 v1, v6, v1
	v_mul_lo_u32 v5, v1, s18
	v_sub_u32_e32 v5, v6, v5
	v_add_u32_e32 v8, 1, v1
	v_subrev_u32_e32 v9, s18, v5
	v_cmp_le_u32_e32 vcc, s18, v5
	s_nop 1
	v_cndmask_b32_e32 v5, v5, v9, vcc
	v_cndmask_b32_e32 v1, v1, v8, vcc
	v_add_u32_e32 v8, 1, v1
	v_cmp_le_u32_e32 vcc, s18, v5
	v_mov_b32_e32 v9, v4
	s_nop 0
	v_cndmask_b32_e32 v8, v1, v8, vcc
.LBB0_6:                                ;   in Loop: Header=BB0_2 Depth=1
	s_or_b64 exec, exec, s[2:3]
	v_mad_u64_u32 v[10:11], s[2:3], v8, s18, 0
	s_load_dwordx2 s[2:3], s[12:13], 0x0
	v_mul_lo_u32 v1, v9, s18
	v_mul_lo_u32 v5, v8, s19
	v_add3_u32 v1, v11, v5, v1
	v_sub_co_u32_e32 v5, vcc, v6, v10
	s_add_u32 s14, s14, 1
	s_nop 0
	v_subb_co_u32_e32 v1, vcc, v7, v1, vcc
	s_addc_u32 s15, s15, 0
	s_waitcnt lgkmcnt(0)
	v_mul_lo_u32 v1, s2, v1
	v_mul_lo_u32 v6, s3, v5
	v_mad_u64_u32 v[2:3], s[2:3], s2, v5, v[2:3]
	s_add_u32 s12, s12, 8
	v_add3_u32 v3, v6, v3, v1
	s_addc_u32 s13, s13, 0
	v_mov_b64_e32 v[6:7], s[6:7]
	s_add_u32 s16, s16, 8
	v_cmp_ge_u64_e32 vcc, s[14:15], v[6:7]
	s_addc_u32 s17, s17, 0
	s_cbranch_vccnz .LBB0_9
; %bb.7:                                ;   in Loop: Header=BB0_2 Depth=1
	v_mov_b64_e32 v[6:7], v[8:9]
	s_branch .LBB0_2
.LBB0_8:
	v_mov_b64_e32 v[8:9], v[6:7]
.LBB0_9:
	s_lshl_b64 s[2:3], s[6:7], 3
	s_add_u32 s2, s10, s2
	s_addc_u32 s3, s11, s3
	s_load_dwordx2 s[6:7], s[2:3], 0x0
	s_load_dwordx2 s[10:11], s[0:1], 0x20
	s_mov_b32 s2, 0x15e75bc
	s_waitcnt lgkmcnt(0)
	v_mul_lo_u32 v1, s6, v9
	v_mul_lo_u32 v4, s7, v8
	v_mad_u64_u32 v[2:3], s[0:1], s6, v8, v[2:3]
	v_add3_u32 v3, v4, v3, v1
	v_mul_hi_u32 v1, v0, s2
	v_mul_u32_u24_e32 v1, 0xbb, v1
	v_cmp_gt_u64_e64 s[0:1], s[10:11], v[8:9]
	v_sub_u32_e32 v36, v0, v1
	v_lshl_add_u64 v[38:39], v[2:3], 3, s[8:9]
	s_and_saveexec_b64 s[2:3], s[0:1]
	s_cbranch_execz .LBB0_13
; %bb.10:
	v_mov_b32_e32 v37, 0
	v_lshl_add_u64 v[0:1], v[36:37], 3, v[38:39]
	v_add_co_u32_e32 v2, vcc, 0x1000, v0
	s_movk_i32 s6, 0xba
	s_nop 0
	v_addc_co_u32_e32 v3, vcc, 0, v1, vcc
	global_load_dwordx2 v[4:5], v[0:1], off
	global_load_dwordx2 v[6:7], v[0:1], off offset:1496
	global_load_dwordx2 v[8:9], v[0:1], off offset:2992
	;; [unrolled: 1-line block ×3, first 2 shown]
	v_add_co_u32_e32 v0, vcc, 0x2000, v0
	s_nop 1
	v_addc_co_u32_e32 v1, vcc, 0, v1, vcc
	global_load_dwordx2 v[12:13], v[2:3], off offset:1888
	global_load_dwordx2 v[14:15], v[2:3], off offset:3384
	;; [unrolled: 1-line block ×4, first 2 shown]
	v_lshl_add_u32 v0, v36, 3, 0
	v_cmp_eq_u32_e32 vcc, s6, v36
	v_add_u32_e32 v1, 0xa00, v0
	v_add_u32_e32 v2, 0x1600, v0
	;; [unrolled: 1-line block ×3, first 2 shown]
	s_waitcnt vmcnt(6)
	ds_write2_b64 v0, v[4:5], v[6:7] offset1:187
	s_waitcnt vmcnt(4)
	ds_write2_b64 v1, v[8:9], v[10:11] offset0:54 offset1:241
	s_waitcnt vmcnt(2)
	ds_write2_b64 v2, v[12:13], v[14:15] offset0:44 offset1:231
	;; [unrolled: 2-line block ×3, first 2 shown]
	s_and_saveexec_b64 s[6:7], vcc
	s_cbranch_execz .LBB0_12
; %bb.11:
	v_add_co_u32_e32 v0, vcc, 0x2000, v38
	v_mov_b32_e32 v36, 0xba
	s_nop 0
	v_addc_co_u32_e32 v1, vcc, 0, v39, vcc
	global_load_dwordx2 v[0:1], v[0:1], off offset:3776
	s_waitcnt vmcnt(0)
	ds_write_b64 v37, v[0:1] offset:11968
.LBB0_12:
	s_or_b64 exec, exec, s[6:7]
.LBB0_13:
	s_or_b64 exec, exec, s[2:3]
	v_lshlrev_b32_e32 v0, 3, v36
	v_add_u32_e32 v180, 0, v0
	s_waitcnt lgkmcnt(0)
	s_barrier
	v_sub_u32_e32 v4, 0, v0
	ds_read_b32 v1, v180
	ds_read_b32 v2, v4 offset:11968
	s_add_u32 s2, s4, 0x2e38
	s_addc_u32 s3, s5, 0
	v_cmp_ne_u32_e32 vcc, 0, v36
	s_waitcnt lgkmcnt(0)
	v_add_f32_e32 v0, v2, v1
	v_sub_f32_e32 v1, v1, v2
                                        ; implicit-def: $vgpr2_vgpr3
	s_and_saveexec_b64 s[6:7], vcc
	s_xor_b64 s[6:7], exec, s[6:7]
	s_cbranch_execz .LBB0_15
; %bb.14:
	v_mov_b32_e32 v37, 0
	v_lshl_add_u64 v[2:3], v[36:37], 3, s[2:3]
	global_load_dwordx2 v[6:7], v[2:3], off
	ds_read_b32 v5, v4 offset:11972
	ds_read_b32 v11, v180 offset:4
	v_mov_b32_e32 v8, v1
	v_mov_b32_e32 v10, v0
	;; [unrolled: 1-line block ×3, first 2 shown]
	v_mov_b64_e32 v[2:3], v[36:37]
	s_waitcnt lgkmcnt(0)
	v_add_f32_e32 v9, v5, v11
	v_sub_f32_e32 v11, v11, v5
	v_mov_b32_e32 v12, v9
	s_waitcnt vmcnt(0)
	v_pk_mul_f32 v[14:15], v[8:9], v[6:7] op_sel:[0,1]
	v_pk_fma_f32 v[8:9], v[8:9], v[6:7], v[10:11] op_sel:[0,1,0]
	v_mov_b32_e32 v1, v15
	v_mov_b32_e32 v15, v11
	v_pk_fma_f32 v[16:17], v[6:7], v[12:13], v[8:9] neg_lo:[1,0,0] neg_hi:[1,0,0]
	v_pk_fma_f32 v[8:9], v[6:7], v[12:13], v[8:9] op_sel_hi:[0,1,1]
	v_pk_add_f32 v[0:1], v[0:1], v[14:15] neg_lo:[0,1] neg_hi:[0,1]
	v_mov_b32_e32 v17, v9
	v_pk_fma_f32 v[0:1], v[6:7], v[12:13], v[0:1] op_sel_hi:[0,1,1]
	ds_write_b64 v4, v[0:1] offset:11968
	v_mov_b64_e32 v[0:1], v[16:17]
.LBB0_15:
	s_andn2_saveexec_b64 s[6:7], s[6:7]
	s_cbranch_execz .LBB0_17
; %bb.16:
	v_mov_b32_e32 v5, 0
	ds_read_b64 v[2:3], v5 offset:5984
	s_mov_b32 s8, 2.0
	s_mov_b32 s9, -2.0
	s_waitcnt lgkmcnt(0)
	v_pk_mul_f32 v[2:3], v[2:3], s[8:9]
	ds_write_b64 v5, v[2:3] offset:5984
	v_mov_b64_e32 v[2:3], 0
.LBB0_17:
	s_or_b64 exec, exec, s[6:7]
	v_lshl_add_u64 v[2:3], v[2:3], 3, s[2:3]
	global_load_dwordx2 v[6:7], v[2:3], off offset:1496
	global_load_dwordx2 v[8:9], v[2:3], off offset:2992
	s_movk_i32 s2, 0x1000
	v_add_co_u32_e32 v2, vcc, s2, v2
	ds_write_b64 v180, v[0:1]
	s_nop 0
	v_addc_co_u32_e32 v3, vcc, 0, v3, vcc
	global_load_dwordx2 v[2:3], v[2:3], off offset:392
	ds_read_b64 v[0:1], v4 offset:10472
	ds_read_b64 v[10:11], v180 offset:1496
	v_add_u32_e32 v18, 0x400, v180
	v_add_u32_e32 v20, 0x800, v180
	;; [unrolled: 1-line block ×4, first 2 shown]
	s_waitcnt lgkmcnt(0)
	v_pk_add_f32 v[12:13], v[10:11], v[0:1]
	v_pk_add_f32 v[0:1], v[10:11], v[0:1] neg_lo:[0,1] neg_hi:[0,1]
	v_mov_b32_e32 v10, v13
	v_mov_b32_e32 v11, v0
	;; [unrolled: 1-line block ×3, first 2 shown]
	s_mov_b32 s6, 0xbe3c28d5
	s_mov_b32 s2, 0xbf7ba420
	;; [unrolled: 1-line block ×19, first 2 shown]
	s_waitcnt vmcnt(2)
	v_pk_mul_f32 v[14:15], v[10:11], v[6:7] op_sel:[0,1]
	s_nop 0
	v_pk_add_f32 v[16:17], v[12:13], v[14:15] op_sel:[0,1] op_sel_hi:[1,0]
	v_mov_b32_e32 v13, v14
	v_mov_b32_e32 v0, v15
	v_pk_fma_f32 v[14:15], v[6:7], v[10:11], v[16:17] neg_lo:[1,0,0] neg_hi:[1,0,0]
	v_pk_fma_f32 v[16:17], v[6:7], v[10:11], v[16:17] op_sel_hi:[0,1,1]
	v_pk_add_f32 v[0:1], v[12:13], v[0:1] neg_lo:[0,1] neg_hi:[0,1]
	v_mov_b32_e32 v15, v17
	v_pk_fma_f32 v[0:1], v[6:7], v[10:11], v[0:1] op_sel_hi:[0,1,1]
	ds_write_b64 v180, v[14:15] offset:1496
	ds_write_b64 v4, v[0:1] offset:10472
	ds_read_b64 v[0:1], v4 offset:8976
	ds_read_b64 v[6:7], v180 offset:2992
	s_waitcnt lgkmcnt(0)
	v_pk_add_f32 v[10:11], v[6:7], v[0:1]
	v_pk_add_f32 v[0:1], v[6:7], v[0:1] neg_lo:[0,1] neg_hi:[0,1]
	v_mov_b32_e32 v6, v11
	v_mov_b32_e32 v7, v0
	v_mov_b32_e32 v11, v1
	s_waitcnt vmcnt(1)
	v_pk_mul_f32 v[12:13], v[6:7], v[8:9] op_sel:[0,1]
	s_nop 0
	v_pk_add_f32 v[14:15], v[10:11], v[12:13] op_sel:[0,1] op_sel_hi:[1,0]
	v_mov_b32_e32 v11, v12
	v_mov_b32_e32 v0, v13
	v_pk_fma_f32 v[12:13], v[8:9], v[6:7], v[14:15] neg_lo:[1,0,0] neg_hi:[1,0,0]
	v_pk_fma_f32 v[14:15], v[8:9], v[6:7], v[14:15] op_sel_hi:[0,1,1]
	v_pk_add_f32 v[0:1], v[10:11], v[0:1] neg_lo:[0,1] neg_hi:[0,1]
	v_mov_b32_e32 v13, v15
	v_pk_fma_f32 v[0:1], v[8:9], v[6:7], v[0:1] op_sel_hi:[0,1,1]
	ds_write_b64 v180, v[12:13] offset:2992
	ds_write_b64 v4, v[0:1] offset:8976
	ds_read_b64 v[0:1], v4 offset:7480
	ds_read_b64 v[6:7], v180 offset:4488
	s_waitcnt lgkmcnt(0)
	v_pk_add_f32 v[8:9], v[6:7], v[0:1]
	v_pk_add_f32 v[0:1], v[6:7], v[0:1] neg_lo:[0,1] neg_hi:[0,1]
	v_mov_b32_e32 v6, v9
	v_mov_b32_e32 v7, v0
	;; [unrolled: 1-line block ×3, first 2 shown]
	s_waitcnt vmcnt(0)
	v_pk_mul_f32 v[10:11], v[6:7], v[2:3] op_sel:[0,1]
	s_nop 0
	v_pk_add_f32 v[12:13], v[8:9], v[10:11] op_sel:[0,1] op_sel_hi:[1,0]
	v_mov_b32_e32 v9, v10
	v_mov_b32_e32 v0, v11
	v_pk_fma_f32 v[10:11], v[2:3], v[6:7], v[12:13] neg_lo:[1,0,0] neg_hi:[1,0,0]
	v_pk_fma_f32 v[12:13], v[2:3], v[6:7], v[12:13] op_sel_hi:[0,1,1]
	v_pk_add_f32 v[0:1], v[8:9], v[0:1] neg_lo:[0,1] neg_hi:[0,1]
	v_mov_b32_e32 v11, v13
	v_pk_fma_f32 v[0:1], v[2:3], v[6:7], v[0:1] op_sel_hi:[0,1,1]
	ds_write_b64 v180, v[10:11] offset:4488
	ds_write_b64 v4, v[0:1] offset:7480
	s_waitcnt lgkmcnt(0)
	s_barrier
	s_barrier
	ds_read2_b64 v[4:7], v180 offset1:88
	ds_read_b64 v[70:71], v180 offset:11264
	ds_read2_b64 v[16:19], v18 offset0:48 offset1:136
	ds_read2_b64 v[8:11], v21 offset0:80 offset1:168
	;; [unrolled: 1-line block ×4, first 2 shown]
	s_waitcnt lgkmcnt(4)
	v_pk_add_f32 v[56:57], v[6:7], v[70:71] neg_lo:[0,1] neg_hi:[0,1]
	v_pk_add_f32 v[54:55], v[70:71], v[6:7]
	s_waitcnt lgkmcnt(2)
	v_pk_add_f32 v[52:53], v[16:17], v[10:11] neg_lo:[0,1] neg_hi:[0,1]
	v_pk_add_f32 v[48:49], v[18:19], v[8:9] neg_lo:[0,1] neg_hi:[0,1]
	v_pk_mul_f32 v[0:1], v[56:57], s[6:7] op_sel_hi:[1,0]
	v_pk_add_f32 v[50:51], v[10:11], v[16:17]
	v_pk_add_f32 v[46:47], v[8:9], v[18:19]
	s_waitcnt lgkmcnt(0)
	v_pk_add_f32 v[44:45], v[20:21], v[14:15] neg_lo:[0,1] neg_hi:[0,1]
	v_pk_mul_f32 v[2:3], v[52:53], s[16:17] op_sel_hi:[1,0]
	v_pk_mul_f32 v[24:25], v[48:49], s[12:13] op_sel_hi:[1,0]
	v_pk_fma_f32 v[32:33], v[54:55], s[2:3], v[0:1] op_sel:[0,0,1] op_sel_hi:[1,0,0] neg_lo:[0,0,1] neg_hi:[0,0,1]
	v_pk_fma_f32 v[0:1], v[54:55], s[2:3], v[0:1] op_sel:[0,0,1] op_sel_hi:[1,0,0]
	v_pk_add_f32 v[42:43], v[14:15], v[20:21]
	v_pk_mul_f32 v[26:27], v[44:45], s[18:19] op_sel_hi:[1,0]
	v_pk_fma_f32 v[34:35], v[50:51], s[8:9], v[2:3] op_sel:[0,0,1] op_sel_hi:[1,0,0] neg_lo:[0,0,1] neg_hi:[0,0,1]
	v_pk_fma_f32 v[2:3], v[50:51], s[8:9], v[2:3] op_sel:[0,0,1] op_sel_hi:[1,0,0]
	v_pk_fma_f32 v[40:41], v[46:47], s[10:11], v[24:25] op_sel:[0,0,1] op_sel_hi:[1,0,0] neg_lo:[0,0,1] neg_hi:[0,0,1]
	v_pk_fma_f32 v[72:73], v[46:47], s[10:11], v[24:25] op_sel:[0,0,1] op_sel_hi:[1,0,0]
	v_mov_b32_e32 v24, v0
	v_mov_b32_e32 v25, v33
	v_pk_fma_f32 v[74:75], v[42:43], s[14:15], v[26:27] op_sel:[0,0,1] op_sel_hi:[1,0,0] neg_lo:[0,0,1] neg_hi:[0,0,1]
	v_pk_fma_f32 v[76:77], v[42:43], s[14:15], v[26:27] op_sel:[0,0,1] op_sel_hi:[1,0,0]
	v_mov_b32_e32 v26, v2
	v_mov_b32_e32 v27, v35
	v_pk_add_f32 v[24:25], v[4:5], v[24:25]
	v_mov_b32_e32 v28, v72
	v_mov_b32_e32 v29, v41
	v_pk_add_f32 v[24:25], v[26:27], v[24:25]
	;; [unrolled: 3-line block ×3, first 2 shown]
	v_pk_add_f32 v[60:61], v[22:23], v[12:13] neg_lo:[0,1] neg_hi:[0,1]
	v_pk_add_f32 v[62:63], v[30:31], v[24:25]
	v_pk_add_f32 v[58:59], v[12:13], v[22:23]
	v_pk_mul_f32 v[24:25], v[60:61], s[24:25] op_sel_hi:[1,0]
	v_add_u32_e32 v0, 0x1000, v180
	v_pk_fma_f32 v[78:79], v[58:59], s[22:23], v[24:25] op_sel:[0,0,1] op_sel_hi:[1,0,0] neg_lo:[0,0,1] neg_hi:[0,0,1]
	v_pk_fma_f32 v[80:81], v[58:59], s[22:23], v[24:25] op_sel:[0,0,1] op_sel_hi:[1,0,0]
	v_add_u32_e32 v2, 0x1800, v180
	ds_read2_b64 v[28:31], v0 offset0:16 offset1:104
	ds_read2_b64 v[24:27], v2 offset0:112 offset1:200
	v_mov_b32_e32 v64, v80
	v_mov_b32_e32 v65, v79
	v_pk_add_f32 v[66:67], v[64:65], v[62:63]
	v_mov_b32_e32 v33, v1
	s_waitcnt lgkmcnt(0)
	v_pk_add_f32 v[64:65], v[28:29], v[26:27] neg_lo:[0,1] neg_hi:[0,1]
	v_pk_add_f32 v[62:63], v[26:27], v[28:29]
	v_pk_mul_f32 v[68:69], v[64:65], s[28:29] op_sel_hi:[1,0]
	v_mov_b32_e32 v35, v3
	v_pk_add_f32 v[0:1], v[4:5], v[32:33]
	v_add_u32_e32 v2, 0x1400, v180
	v_pk_fma_f32 v[82:83], v[62:63], s[26:27], v[68:69] op_sel:[0,0,1] op_sel_hi:[1,0,0] neg_lo:[0,0,1] neg_hi:[0,0,1]
	v_pk_fma_f32 v[84:85], v[62:63], s[26:27], v[68:69] op_sel:[0,0,1] op_sel_hi:[1,0,0]
	v_pk_add_f32 v[0:1], v[34:35], v[0:1]
	ds_read2_b64 v[32:35], v2 offset0:64 offset1:152
	v_mov_b32_e32 v68, v84
	v_mov_b32_e32 v69, v83
	;; [unrolled: 1-line block ×3, first 2 shown]
	v_pk_add_f32 v[86:87], v[68:69], v[66:67]
	v_pk_add_f32 v[68:69], v[30:31], v[24:25] neg_lo:[0,1] neg_hi:[0,1]
	v_pk_add_f32 v[0:1], v[40:41], v[0:1]
	v_mov_b32_e32 v75, v77
	v_pk_add_f32 v[66:67], v[24:25], v[30:31]
	v_pk_mul_f32 v[88:89], v[68:69], s[34:35] op_sel_hi:[1,0]
	v_pk_add_f32 v[0:1], v[74:75], v[0:1]
	v_mov_b32_e32 v79, v81
	v_pk_fma_f32 v[90:91], v[66:67], s[30:31], v[88:89] op_sel:[0,0,1] op_sel_hi:[1,0,0] neg_lo:[0,0,1] neg_hi:[0,0,1]
	v_pk_fma_f32 v[88:89], v[66:67], s[30:31], v[88:89] op_sel:[0,0,1] op_sel_hi:[1,0,0]
	v_pk_add_f32 v[0:1], v[78:79], v[0:1]
	v_mov_b32_e32 v83, v85
	v_mov_b32_e32 v92, v88
	;; [unrolled: 1-line block ×3, first 2 shown]
	v_pk_add_f32 v[0:1], v[82:83], v[0:1]
	v_mov_b32_e32 v91, v89
	s_waitcnt lgkmcnt(0)
	v_pk_add_f32 v[100:101], v[32:33], v[34:35] neg_lo:[0,1] neg_hi:[0,1]
	v_pk_add_f32 v[86:87], v[92:93], v[86:87]
	v_pk_add_f32 v[2:3], v[90:91], v[0:1]
	v_pk_add_f32 v[92:93], v[34:35], v[32:33]
	v_pk_mul_f32 v[0:1], v[100:101], s[38:39] op_sel_hi:[1,0]
	s_nop 0
	v_pk_fma_f32 v[40:41], v[92:93], s[36:37], v[0:1] op_sel:[0,0,1] op_sel_hi:[1,0,0] neg_lo:[0,0,1] neg_hi:[0,0,1]
	v_pk_fma_f32 v[0:1], v[92:93], s[36:37], v[0:1] op_sel:[0,0,1] op_sel_hi:[1,0,0]
	v_mov_b32_e32 v73, v41
	v_mov_b32_e32 v41, v1
	;; [unrolled: 1-line block ×3, first 2 shown]
	v_pk_add_f32 v[2:3], v[40:41], v[2:3]
	v_pk_mul_f32 v[40:41], v[56:57], s[12:13] op_sel_hi:[1,0]
	v_pk_add_f32 v[0:1], v[72:73], v[86:87]
	v_pk_fma_f32 v[98:99], v[54:55], s[10:11], v[40:41] op_sel:[0,0,1] op_sel_hi:[1,0,0]
	v_pk_fma_f32 v[106:107], v[54:55], s[10:11], v[40:41] op_sel:[0,0,1] op_sel_hi:[1,0,0] neg_lo:[0,0,1] neg_hi:[0,0,1]
	v_pk_mul_f32 v[72:73], v[52:53], s[28:29] op_sel_hi:[1,0]
	v_mov_b32_e32 v40, v106
	v_mov_b32_e32 v41, v99
	v_pk_fma_f32 v[108:109], v[50:51], s[26:27], v[72:73] op_sel:[0,0,1] op_sel_hi:[1,0,0]
	v_pk_fma_f32 v[110:111], v[50:51], s[26:27], v[72:73] op_sel:[0,0,1] op_sel_hi:[1,0,0] neg_lo:[0,0,1] neg_hi:[0,0,1]
	v_pk_add_f32 v[40:41], v[4:5], v[40:41]
	v_mov_b32_e32 v72, v110
	v_mov_b32_e32 v73, v109
	v_pk_add_f32 v[40:41], v[72:73], v[40:41]
	v_pk_mul_f32 v[72:73], v[48:49], s[46:47] op_sel_hi:[1,0]
	s_barrier
	v_pk_fma_f32 v[116:117], v[46:47], s[36:37], v[72:73] op_sel:[0,0,1] op_sel_hi:[1,0,0]
	v_pk_fma_f32 v[118:119], v[46:47], s[36:37], v[72:73] op_sel:[0,0,1] op_sel_hi:[1,0,0] neg_lo:[0,0,1] neg_hi:[0,0,1]
	v_mov_b32_e32 v73, v117
	v_mov_b32_e32 v72, v118
	v_pk_add_f32 v[40:41], v[72:73], v[40:41]
	v_pk_mul_f32 v[72:73], v[44:45], s[44:45] op_sel_hi:[1,0]
	s_nop 0
	v_pk_fma_f32 v[120:121], v[42:43], s[22:23], v[72:73] op_sel:[0,0,1] op_sel_hi:[1,0,0]
	v_pk_fma_f32 v[122:123], v[42:43], s[22:23], v[72:73] op_sel:[0,0,1] op_sel_hi:[1,0,0] neg_lo:[0,0,1] neg_hi:[0,0,1]
	v_mov_b32_e32 v73, v121
	v_mov_b32_e32 v72, v122
	v_pk_add_f32 v[40:41], v[72:73], v[40:41]
	v_pk_mul_f32 v[72:73], v[60:61], s[40:41] op_sel_hi:[1,0]
	s_nop 0
	;; [unrolled: 7-line block ×3, first 2 shown]
	v_pk_fma_f32 v[128:129], v[62:63], s[2:3], v[72:73] op_sel:[0,0,1] op_sel_hi:[1,0,0]
	v_pk_fma_f32 v[130:131], v[62:63], s[2:3], v[72:73] op_sel:[0,0,1] op_sel_hi:[1,0,0] neg_lo:[0,0,1] neg_hi:[0,0,1]
	v_mov_b32_e32 v73, v129
	v_mov_b32_e32 v72, v130
	v_pk_add_f32 v[40:41], v[72:73], v[40:41]
	v_pk_mul_f32 v[72:73], v[68:69], s[18:19] op_sel_hi:[1,0]
	s_movk_i32 s3, 0x58
	v_pk_fma_f32 v[132:133], v[66:67], s[14:15], v[72:73] op_sel:[0,0,1] op_sel_hi:[1,0,0]
	v_pk_fma_f32 v[134:135], v[66:67], s[14:15], v[72:73] op_sel:[0,0,1] op_sel_hi:[1,0,0] neg_lo:[0,0,1] neg_hi:[0,0,1]
	v_mov_b32_e32 v73, v133
	v_mov_b32_e32 v72, v134
	v_pk_add_f32 v[40:41], v[72:73], v[40:41]
	v_pk_mul_f32 v[72:73], v[100:101], s[34:35] op_sel_hi:[1,0]
	v_cmp_gt_u32_e32 vcc, s3, v36
	v_pk_fma_f32 v[136:137], v[92:93], s[30:31], v[72:73] op_sel:[0,0,1] op_sel_hi:[1,0,0]
	v_pk_fma_f32 v[138:139], v[92:93], s[30:31], v[72:73] op_sel:[0,0,1] op_sel_hi:[1,0,0] neg_lo:[0,0,1] neg_hi:[0,0,1]
	v_mov_b32_e32 v73, v137
	v_mov_b32_e32 v72, v138
	v_pk_add_f32 v[40:41], v[72:73], v[40:41]
	s_and_saveexec_b64 s[20:21], vcc
	s_cbranch_execz .LBB0_19
; %bb.18:
	v_pk_add_f32 v[6:7], v[4:5], v[6:7]
	s_mov_b32 s42, 0xbf2c7751
	v_pk_add_f32 v[6:7], v[6:7], v[16:17]
	s_mov_b32 s48, 0xbf65296c
	v_pk_add_f32 v[6:7], v[6:7], v[18:19]
	v_pk_mul_f32 v[78:79], v[52:53], s[46:47] op_sel_hi:[1,0]
	v_pk_add_f32 v[6:7], v[6:7], v[20:21]
	s_mov_b32 s52, 0x3f06c442
	v_pk_add_f32 v[6:7], v[6:7], v[22:23]
	s_mov_b32 s50, 0x3f763a35
	;; [unrolled: 2-line block ×3, first 2 shown]
	v_pk_add_f32 v[6:7], v[6:7], v[30:31]
	v_pk_mul_f32 v[214:215], v[52:53], s[52:53] op_sel_hi:[1,0]
	v_pk_add_f32 v[6:7], v[6:7], v[32:33]
	v_pk_fma_f32 v[216:217], v[50:51], s[10:11], v[214:215] op_sel:[0,0,1] op_sel_hi:[1,0,0]
	v_pk_add_f32 v[6:7], v[6:7], v[34:35]
	v_pk_fma_f32 v[214:215], v[50:51], s[10:11], v[214:215] op_sel:[0,0,1] op_sel_hi:[1,0,0] neg_lo:[0,0,1] neg_hi:[0,0,1]
	v_pk_add_f32 v[6:7], v[6:7], v[24:25]
	v_mov_b32_e32 v218, v216
	v_pk_add_f32 v[6:7], v[6:7], v[26:27]
	v_mov_b32_e32 v219, v215
	v_pk_add_f32 v[6:7], v[6:7], v[12:13]
	v_pk_mul_f32 v[12:13], v[52:53], s[42:43] op_sel_hi:[1,0]
	v_pk_add_f32 v[6:7], v[6:7], v[14:15]
	v_mov_b32_e32 v99, v107
	v_pk_add_f32 v[6:7], v[6:7], v[8:9]
	v_pk_mul_f32 v[8:9], v[56:57], s[40:41] op_sel_hi:[1,0]
	v_pk_add_f32 v[6:7], v[6:7], v[10:11]
	v_mov_b32_e32 v109, v111
	v_pk_add_f32 v[72:73], v[6:7], v[70:71]
	v_pk_fma_f32 v[6:7], v[54:55], s[8:9], v[8:9] op_sel:[0,0,1] op_sel_hi:[1,0,0]
	v_pk_fma_f32 v[8:9], v[54:55], s[8:9], v[8:9] op_sel:[0,0,1] op_sel_hi:[1,0,0] neg_lo:[0,0,1] neg_hi:[0,0,1]
	v_mov_b32_e32 v10, v6
	v_mov_b32_e32 v11, v9
	v_pk_add_f32 v[14:15], v[4:5], v[10:11]
	v_pk_fma_f32 v[10:11], v[50:51], s[14:15], v[12:13] op_sel:[0,0,1] op_sel_hi:[1,0,0]
	v_pk_fma_f32 v[12:13], v[50:51], s[14:15], v[12:13] op_sel:[0,0,1] op_sel_hi:[1,0,0] neg_lo:[0,0,1] neg_hi:[0,0,1]
	v_mov_b32_e32 v16, v10
	v_mov_b32_e32 v17, v13
	v_pk_add_f32 v[18:19], v[16:17], v[14:15]
	v_pk_mul_f32 v[16:17], v[48:49], s[48:49] op_sel_hi:[1,0]
	v_lshl_add_u32 v6, v36, 7, v180
	v_pk_fma_f32 v[14:15], v[46:47], s[26:27], v[16:17] op_sel:[0,0,1] op_sel_hi:[1,0,0]
	v_pk_fma_f32 v[16:17], v[46:47], s[26:27], v[16:17] op_sel:[0,0,1] op_sel_hi:[1,0,0] neg_lo:[0,0,1] neg_hi:[0,0,1]
	v_mov_b32_e32 v20, v14
	v_mov_b32_e32 v21, v17
	v_pk_add_f32 v[22:23], v[20:21], v[18:19]
	v_pk_mul_f32 v[20:21], v[44:45], s[46:47] op_sel_hi:[1,0]
	v_mov_b32_e32 v117, v119
	v_pk_fma_f32 v[18:19], v[42:43], s[36:37], v[20:21] op_sel:[0,0,1] op_sel_hi:[1,0,0]
	v_pk_fma_f32 v[20:21], v[42:43], s[36:37], v[20:21] op_sel:[0,0,1] op_sel_hi:[1,0,0] neg_lo:[0,0,1] neg_hi:[0,0,1]
	v_mov_b32_e32 v24, v18
	v_mov_b32_e32 v25, v21
	v_pk_add_f32 v[26:27], v[24:25], v[22:23]
	v_pk_mul_f32 v[24:25], v[60:61], s[34:35] op_sel_hi:[1,0]
	v_mov_b32_e32 v121, v123
	;; [unrolled: 7-line block ×5, first 2 shown]
	v_pk_fma_f32 v[34:35], v[92:93], s[2:3], v[70:71] op_sel:[0,0,1] op_sel_hi:[1,0,0]
	v_pk_fma_f32 v[70:71], v[92:93], s[2:3], v[70:71] op_sel:[0,0,1] op_sel_hi:[1,0,0] neg_lo:[0,0,1] neg_hi:[0,0,1]
	v_mov_b32_e32 v76, v34
	v_mov_b32_e32 v77, v71
	v_pk_add_f32 v[74:75], v[76:77], v[74:75]
	ds_write2_b64 v6, v[72:73], v[74:75] offset1:1
	v_pk_mul_f32 v[74:75], v[56:57], s[42:43] op_sel_hi:[1,0]
	v_mov_b32_e32 v137, v139
	v_pk_fma_f32 v[72:73], v[54:55], s[14:15], v[74:75] op_sel:[0,0,1] op_sel_hi:[1,0,0]
	v_pk_fma_f32 v[74:75], v[54:55], s[14:15], v[74:75] op_sel:[0,0,1] op_sel_hi:[1,0,0] neg_lo:[0,0,1] neg_hi:[0,0,1]
	v_mov_b32_e32 v76, v72
	v_mov_b32_e32 v77, v75
	v_pk_add_f32 v[80:81], v[4:5], v[76:77]
	v_pk_fma_f32 v[76:77], v[50:51], s[36:37], v[78:79] op_sel:[0,0,1] op_sel_hi:[1,0,0]
	v_pk_fma_f32 v[78:79], v[50:51], s[36:37], v[78:79] op_sel:[0,0,1] op_sel_hi:[1,0,0] neg_lo:[0,0,1] neg_hi:[0,0,1]
	v_mov_b32_e32 v82, v76
	v_mov_b32_e32 v83, v79
	v_pk_add_f32 v[84:85], v[82:83], v[80:81]
	v_pk_mul_f32 v[82:83], v[48:49], s[24:25] op_sel_hi:[1,0]
	v_mov_b32_e32 v215, v217
	v_pk_fma_f32 v[80:81], v[46:47], s[22:23], v[82:83] op_sel:[0,0,1] op_sel_hi:[1,0,0]
	v_pk_fma_f32 v[82:83], v[46:47], s[22:23], v[82:83] op_sel:[0,0,1] op_sel_hi:[1,0,0] neg_lo:[0,0,1] neg_hi:[0,0,1]
	v_mov_b32_e32 v86, v80
	v_mov_b32_e32 v87, v83
	v_pk_add_f32 v[88:89], v[86:87], v[84:85]
	v_pk_mul_f32 v[86:87], v[44:45], s[6:7] op_sel_hi:[1,0]
	v_mov_b32_e32 v75, v73
	;; [unrolled: 7-line block ×14, first 2 shown]
	v_pk_fma_f32 v[168:169], v[92:93], s[10:11], v[170:171] op_sel:[0,0,1] op_sel_hi:[1,0,0]
	v_pk_fma_f32 v[170:171], v[92:93], s[10:11], v[170:171] op_sel:[0,0,1] op_sel_hi:[1,0,0] neg_lo:[0,0,1] neg_hi:[0,0,1]
	v_mov_b32_e32 v176, v168
	v_mov_b32_e32 v177, v171
	v_pk_add_f32 v[174:175], v[176:177], v[174:175]
	ds_write2_b64 v6, v[172:173], v[174:175] offset0:2 offset1:3
	v_pk_mul_f32 v[172:173], v[56:57], s[46:47] op_sel_hi:[1,0]
	v_mov_b32_e32 v91, v89
	v_pk_fma_f32 v[174:175], v[54:55], s[36:37], v[172:173] op_sel:[0,0,1] op_sel_hi:[1,0,0]
	v_pk_fma_f32 v[172:173], v[54:55], s[36:37], v[172:173] op_sel:[0,0,1] op_sel_hi:[1,0,0] neg_lo:[0,0,1] neg_hi:[0,0,1]
	v_mov_b32_e32 v176, v174
	v_mov_b32_e32 v177, v173
	v_pk_add_f32 v[182:183], v[4:5], v[176:177]
	v_pk_mul_f32 v[176:177], v[52:53], s[6:7] op_sel_hi:[1,0]
	v_pk_mul_f32 v[52:53], v[52:53], s[50:51] op_sel_hi:[1,0]
	v_pk_fma_f32 v[178:179], v[50:51], s[2:3], v[176:177] op_sel:[0,0,1] op_sel_hi:[1,0,0]
	v_pk_fma_f32 v[176:177], v[50:51], s[2:3], v[176:177] op_sel:[0,0,1] op_sel_hi:[1,0,0] neg_lo:[0,0,1] neg_hi:[0,0,1]
	v_mov_b32_e32 v184, v178
	v_mov_b32_e32 v185, v177
	v_pk_add_f32 v[182:183], v[184:185], v[182:183]
	v_pk_mul_f32 v[184:185], v[48:49], s[50:51] op_sel_hi:[1,0]
	v_mov_b32_e32 v173, v175
	v_pk_fma_f32 v[186:187], v[46:47], s[30:31], v[184:185] op_sel:[0,0,1] op_sel_hi:[1,0,0]
	v_pk_fma_f32 v[184:185], v[46:47], s[30:31], v[184:185] op_sel:[0,0,1] op_sel_hi:[1,0,0] neg_lo:[0,0,1] neg_hi:[0,0,1]
	v_mov_b32_e32 v188, v186
	v_mov_b32_e32 v189, v185
	v_pk_add_f32 v[182:183], v[188:189], v[182:183]
	v_pk_mul_f32 v[188:189], v[44:45], s[16:17] op_sel_hi:[1,0]
	v_mov_b32_e32 v177, v179
	v_pk_fma_f32 v[190:191], v[42:43], s[8:9], v[188:189] op_sel:[0,0,1] op_sel_hi:[1,0,0]
	v_pk_fma_f32 v[188:189], v[42:43], s[8:9], v[188:189] op_sel:[0,0,1] op_sel_hi:[1,0,0] neg_lo:[0,0,1] neg_hi:[0,0,1]
	v_mov_b32_e32 v192, v190
	v_mov_b32_e32 v193, v189
	v_pk_add_f32 v[182:183], v[192:193], v[182:183]
	v_pk_mul_f32 v[192:193], v[60:61], s[48:49] op_sel_hi:[1,0]
	v_mov_b32_e32 v185, v187
	v_pk_fma_f32 v[194:195], v[58:59], s[26:27], v[192:193] op_sel:[0,0,1] op_sel_hi:[1,0,0]
	v_pk_fma_f32 v[192:193], v[58:59], s[26:27], v[192:193] op_sel:[0,0,1] op_sel_hi:[1,0,0] neg_lo:[0,0,1] neg_hi:[0,0,1]
	v_mov_b32_e32 v196, v194
	v_mov_b32_e32 v197, v193
	v_pk_add_f32 v[182:183], v[196:197], v[182:183]
	v_pk_mul_f32 v[196:197], v[64:65], s[12:13] op_sel_hi:[1,0]
	v_mov_b32_e32 v189, v191
	v_pk_fma_f32 v[198:199], v[62:63], s[10:11], v[196:197] op_sel:[0,0,1] op_sel_hi:[1,0,0]
	v_pk_fma_f32 v[196:197], v[62:63], s[10:11], v[196:197] op_sel:[0,0,1] op_sel_hi:[1,0,0] neg_lo:[0,0,1] neg_hi:[0,0,1]
	v_mov_b32_e32 v200, v198
	v_mov_b32_e32 v201, v197
	v_pk_add_f32 v[182:183], v[200:201], v[182:183]
	v_pk_mul_f32 v[200:201], v[68:69], s[44:45] op_sel_hi:[1,0]
	v_mov_b32_e32 v193, v195
	v_pk_fma_f32 v[202:203], v[66:67], s[22:23], v[200:201] op_sel:[0,0,1] op_sel_hi:[1,0,0]
	v_pk_fma_f32 v[200:201], v[66:67], s[22:23], v[200:201] op_sel:[0,0,1] op_sel_hi:[1,0,0] neg_lo:[0,0,1] neg_hi:[0,0,1]
	v_mov_b32_e32 v204, v202
	v_mov_b32_e32 v205, v201
	v_pk_add_f32 v[182:183], v[204:205], v[182:183]
	v_pk_mul_f32 v[204:205], v[100:101], s[18:19] op_sel_hi:[1,0]
	v_mov_b32_e32 v197, v199
	v_pk_fma_f32 v[206:207], v[92:93], s[14:15], v[204:205] op_sel:[0,0,1] op_sel_hi:[1,0,0]
	v_pk_fma_f32 v[204:205], v[92:93], s[14:15], v[204:205] op_sel:[0,0,1] op_sel_hi:[1,0,0] neg_lo:[0,0,1] neg_hi:[0,0,1]
	v_mov_b32_e32 v208, v206
	v_mov_b32_e32 v209, v205
	v_pk_add_f32 v[182:183], v[208:209], v[182:183]
	v_pk_mul_f32 v[208:209], v[56:57], s[34:35] op_sel_hi:[1,0]
	v_pk_mul_f32 v[56:57], v[56:57], s[24:25] op_sel_hi:[1,0]
	v_pk_fma_f32 v[210:211], v[54:55], s[30:31], v[208:209] op_sel:[0,0,1] op_sel_hi:[1,0,0]
	v_pk_fma_f32 v[208:209], v[54:55], s[30:31], v[208:209] op_sel:[0,0,1] op_sel_hi:[1,0,0] neg_lo:[0,0,1] neg_hi:[0,0,1]
	v_mov_b32_e32 v212, v210
	v_mov_b32_e32 v213, v209
	v_pk_add_f32 v[212:213], v[4:5], v[212:213]
	v_mov_b32_e32 v209, v211
	v_pk_add_f32 v[212:213], v[218:219], v[212:213]
	v_pk_mul_f32 v[218:219], v[48:49], s[18:19] op_sel_hi:[1,0]
	v_pk_mul_f32 v[48:49], v[48:49], s[40:41] op_sel_hi:[1,0]
	v_pk_fma_f32 v[220:221], v[46:47], s[14:15], v[218:219] op_sel:[0,0,1] op_sel_hi:[1,0,0]
	v_pk_fma_f32 v[218:219], v[46:47], s[14:15], v[218:219] op_sel:[0,0,1] op_sel_hi:[1,0,0] neg_lo:[0,0,1] neg_hi:[0,0,1]
	v_mov_b32_e32 v222, v220
	v_mov_b32_e32 v223, v219
	v_pk_add_f32 v[212:213], v[222:223], v[212:213]
	v_pk_mul_f32 v[222:223], v[44:45], s[48:49] op_sel_hi:[1,0]
	v_pk_mul_f32 v[44:45], v[44:45], s[12:13] op_sel_hi:[1,0]
	v_pk_fma_f32 v[224:225], v[42:43], s[26:27], v[222:223] op_sel:[0,0,1] op_sel_hi:[1,0,0]
	v_pk_fma_f32 v[222:223], v[42:43], s[26:27], v[222:223] op_sel:[0,0,1] op_sel_hi:[1,0,0] neg_lo:[0,0,1] neg_hi:[0,0,1]
	v_mov_b32_e32 v226, v224
	v_mov_b32_e32 v227, v223
	v_pk_add_f32 v[212:213], v[226:227], v[212:213]
	v_pk_mul_f32 v[226:227], v[60:61], s[6:7] op_sel_hi:[1,0]
	v_mov_b32_e32 v219, v221
	v_pk_fma_f32 v[228:229], v[58:59], s[2:3], v[226:227] op_sel:[0,0,1] op_sel_hi:[1,0,0]
	v_pk_fma_f32 v[226:227], v[58:59], s[2:3], v[226:227] op_sel:[0,0,1] op_sel_hi:[1,0,0] neg_lo:[0,0,1] neg_hi:[0,0,1]
	v_mov_b32_e32 v230, v228
	v_mov_b32_e32 v231, v227
	v_pk_add_f32 v[212:213], v[230:231], v[212:213]
	v_pk_mul_f32 v[230:231], v[64:65], s[38:39] op_sel_hi:[1,0]
	v_mov_b32_e32 v223, v225
	;; [unrolled: 7-line block ×4, first 2 shown]
	v_pk_fma_f32 v[240:241], v[92:93], s[22:23], v[238:239] op_sel:[0,0,1] op_sel_hi:[1,0,0]
	v_pk_fma_f32 v[238:239], v[92:93], s[22:23], v[238:239] op_sel:[0,0,1] op_sel_hi:[1,0,0] neg_lo:[0,0,1] neg_hi:[0,0,1]
	v_mov_b32_e32 v242, v240
	v_mov_b32_e32 v243, v239
	v_pk_add_f32 v[212:213], v[242:243], v[212:213]
	ds_write2_b64 v6, v[182:183], v[212:213] offset0:4 offset1:5
	v_pk_fma_f32 v[182:183], v[54:55], s[22:23], v[56:57] op_sel:[0,0,1] op_sel_hi:[1,0,0]
	v_pk_fma_f32 v[54:55], v[54:55], s[22:23], v[56:57] op_sel:[0,0,1] op_sel_hi:[1,0,0] neg_lo:[0,0,1] neg_hi:[0,0,1]
	v_pk_fma_f32 v[56:57], v[50:51], s[30:31], v[52:53] op_sel:[0,0,1] op_sel_hi:[1,0,0]
	v_pk_fma_f32 v[50:51], v[50:51], s[30:31], v[52:53] op_sel:[0,0,1] op_sel_hi:[1,0,0] neg_lo:[0,0,1] neg_hi:[0,0,1]
	v_mov_b32_e32 v52, v182
	v_mov_b32_e32 v53, v55
	v_pk_add_f32 v[52:53], v[4:5], v[52:53]
	v_mov_b32_e32 v212, v56
	v_mov_b32_e32 v213, v51
	v_pk_add_f32 v[52:53], v[212:213], v[52:53]
	v_pk_fma_f32 v[212:213], v[46:47], s[8:9], v[48:49] op_sel:[0,0,1] op_sel_hi:[1,0,0]
	v_pk_fma_f32 v[46:47], v[46:47], s[8:9], v[48:49] op_sel:[0,0,1] op_sel_hi:[1,0,0] neg_lo:[0,0,1] neg_hi:[0,0,1]
	v_mov_b32_e32 v48, v212
	v_mov_b32_e32 v49, v47
	v_pk_add_f32 v[48:49], v[48:49], v[52:53]
	v_pk_fma_f32 v[52:53], v[42:43], s[10:11], v[44:45] op_sel:[0,0,1] op_sel_hi:[1,0,0]
	v_pk_fma_f32 v[42:43], v[42:43], s[10:11], v[44:45] op_sel:[0,0,1] op_sel_hi:[1,0,0] neg_lo:[0,0,1] neg_hi:[0,0,1]
	v_mov_b32_e32 v44, v52
	v_mov_b32_e32 v45, v43
	v_pk_add_f32 v[44:45], v[44:45], v[48:49]
	v_pk_mul_f32 v[48:49], v[60:61], s[38:39] op_sel_hi:[1,0]
	v_mov_b32_e32 v235, v237
	v_pk_fma_f32 v[60:61], v[58:59], s[36:37], v[48:49] op_sel:[0,0,1] op_sel_hi:[1,0,0]
	v_pk_fma_f32 v[48:49], v[58:59], s[36:37], v[48:49] op_sel:[0,0,1] op_sel_hi:[1,0,0] neg_lo:[0,0,1] neg_hi:[0,0,1]
	v_mov_b32_e32 v58, v60
	v_mov_b32_e32 v59, v49
	v_pk_add_f32 v[44:45], v[58:59], v[44:45]
	v_pk_mul_f32 v[58:59], v[64:65], s[42:43] op_sel_hi:[1,0]
	v_mov_b32_e32 v201, v203
	;; [unrolled: 7-line block ×4, first 2 shown]
	v_pk_fma_f32 v[100:101], v[92:93], s[26:27], v[66:67] op_sel:[0,0,1] op_sel_hi:[1,0,0]
	v_pk_fma_f32 v[66:67], v[92:93], s[26:27], v[66:67] op_sel:[0,0,1] op_sel_hi:[1,0,0] neg_lo:[0,0,1] neg_hi:[0,0,1]
	v_mov_b32_e32 v92, v100
	v_mov_b32_e32 v93, v67
	v_pk_add_f32 v[44:45], v[92:93], v[44:45]
	v_pk_add_f32 v[92:93], v[4:5], v[98:99]
	v_mov_b32_e32 v55, v183
	v_pk_add_f32 v[92:93], v[108:109], v[92:93]
	v_mov_b32_e32 v51, v57
	;; [unrolled: 2-line block ×7, first 2 shown]
	v_pk_add_f32 v[92:93], v[136:137], v[92:93]
	ds_write2_b64 v6, v[44:45], v[92:93] offset0:6 offset1:7
	v_pk_add_f32 v[44:45], v[4:5], v[208:209]
	v_pk_add_f32 v[92:93], v[4:5], v[172:173]
	;; [unrolled: 1-line block ×16, first 2 shown]
	ds_write2_b64 v6, v[44:45], v[92:93] offset0:12 offset1:13
	v_pk_add_f32 v[44:45], v[4:5], v[54:55]
	v_mov_b32_e32 v67, v101
	v_pk_add_f32 v[44:45], v[50:51], v[44:45]
	v_mov_b32_e32 v25, v23
	;; [unrolled: 2-line block ×3, first 2 shown]
	v_pk_add_f32 v[42:43], v[42:43], v[44:45]
	v_pk_add_f32 v[44:45], v[4:5], v[74:75]
	v_pk_add_f32 v[42:43], v[48:49], v[42:43]
	v_pk_add_f32 v[44:45], v[78:79], v[44:45]
	v_pk_add_f32 v[42:43], v[58:59], v[42:43]
	v_pk_add_f32 v[44:45], v[82:83], v[44:45]
	v_pk_add_f32 v[42:43], v[62:63], v[42:43]
	v_pk_add_f32 v[44:45], v[86:87], v[44:45]
	v_pk_add_f32 v[42:43], v[66:67], v[42:43]
	ds_write2_b64 v6, v[40:41], v[42:43] offset0:10 offset1:11
	v_pk_add_f32 v[42:43], v[4:5], v[140:141]
	v_pk_add_f32 v[4:5], v[4:5], v[8:9]
	;; [unrolled: 1-line block ×10, first 2 shown]
	v_mov_b32_e32 v97, v95
	v_pk_add_f32 v[4:5], v[24:25], v[4:5]
	v_mov_b32_e32 v29, v27
	v_pk_add_f32 v[42:43], v[162:163], v[42:43]
	v_mov_b32_e32 v167, v165
	v_pk_add_f32 v[44:45], v[96:97], v[44:45]
	v_mov_b32_e32 v105, v103
	v_pk_add_f32 v[4:5], v[28:29], v[4:5]
	v_mov_b32_e32 v33, v31
	v_pk_add_f32 v[42:43], v[166:167], v[42:43]
	v_mov_b32_e32 v171, v169
	v_pk_add_f32 v[44:45], v[104:105], v[44:45]
	v_mov_b32_e32 v115, v113
	v_pk_add_f32 v[4:5], v[32:33], v[4:5]
	v_mov_b32_e32 v71, v35
	v_pk_add_f32 v[42:43], v[170:171], v[42:43]
	v_pk_add_f32 v[44:45], v[114:115], v[44:45]
	v_pk_add_f32 v[4:5], v[70:71], v[4:5]
	ds_write2_b64 v6, v[0:1], v[2:3] offset0:8 offset1:9
	ds_write2_b64 v6, v[42:43], v[44:45] offset0:14 offset1:15
	ds_write_b64 v6, v[4:5] offset:128
.LBB0_19:
	s_or_b64 exec, exec, s[20:21]
	s_movk_i32 s2, 0xf1
	v_mul_lo_u16_sdwa v4, v36, s2 dst_sel:DWORD dst_unused:UNUSED_PAD src0_sel:BYTE_0 src1_sel:DWORD
	v_lshrrev_b16_e32 v34, 12, v4
	v_mul_lo_u16_e32 v4, 17, v34
	v_sub_u16_e32 v35, v36, v4
	v_mov_b32_e32 v4, 7
	v_mul_u32_u24_sdwa v4, v35, v4 dst_sel:DWORD dst_unused:UNUSED_PAD src0_sel:BYTE_0 src1_sel:DWORD
	v_lshlrev_b32_e32 v16, 3, v4
	s_waitcnt lgkmcnt(0)
	s_barrier
	global_load_dwordx2 v[32:33], v16, s[4:5] offset:48
	global_load_dwordx4 v[4:7], v16, s[4:5]
	global_load_dwordx4 v[8:11], v16, s[4:5] offset:16
	global_load_dwordx4 v[12:15], v16, s[4:5] offset:32
	v_add_u32_e32 v20, 0xa00, v180
	v_add_u32_e32 v24, 0x1600, v180
	;; [unrolled: 1-line block ×3, first 2 shown]
	ds_read2_b64 v[16:19], v180 offset1:187
	ds_read2_b64 v[20:23], v20 offset0:54 offset1:241
	ds_read2_b64 v[24:27], v24 offset0:44 offset1:231
	;; [unrolled: 1-line block ×3, first 2 shown]
	v_mov_b32_e32 v37, 3
	v_mul_u32_u24_e32 v34, 0x440, v34
	v_lshlrev_b32_sdwa v35, v37, v35 dst_sel:DWORD dst_unused:UNUSED_PAD src0_sel:DWORD src1_sel:BYTE_0
	v_add3_u32 v56, 0, v34, v35
	s_mov_b32 s2, 0x3f3504f3
	s_waitcnt lgkmcnt(0)
	s_barrier
	s_waitcnt vmcnt(3)
	v_mov_b32_e32 v34, v33
	v_pk_mul_f32 v[42:43], v[30:31], v[32:33] op_sel:[1,0] op_sel_hi:[0,1]
	s_waitcnt vmcnt(2)
	v_pk_mul_f32 v[44:45], v[4:5], v[18:19] op_sel:[0,1]
	v_pk_mul_f32 v[46:47], v[6:7], v[20:21] op_sel:[0,1]
	s_waitcnt vmcnt(1)
	v_pk_mul_f32 v[48:49], v[8:9], v[22:23] op_sel:[0,1]
	v_pk_mul_f32 v[50:51], v[10:11], v[24:25] op_sel:[0,1]
	;; [unrolled: 3-line block ×3, first 2 shown]
	v_pk_mul_f32 v[34:35], v[30:31], v[34:35] op_sel:[1,0] op_sel_hi:[0,1]
	v_mov_b32_e32 v37, v42
	v_pk_fma_f32 v[42:43], v[4:5], v[18:19], v[44:45] op_sel:[0,0,1] op_sel_hi:[1,1,0]
	v_pk_fma_f32 v[4:5], v[4:5], v[18:19], v[44:45] op_sel:[0,0,1] op_sel_hi:[1,0,0] neg_lo:[1,0,0] neg_hi:[1,0,0]
	v_pk_fma_f32 v[18:19], v[6:7], v[20:21], v[46:47] op_sel:[0,0,1] op_sel_hi:[1,1,0]
	v_pk_fma_f32 v[6:7], v[6:7], v[20:21], v[46:47] op_sel:[0,0,1] op_sel_hi:[1,0,0] neg_lo:[1,0,0] neg_hi:[1,0,0]
	;; [unrolled: 2-line block ×6, first 2 shown]
	v_pk_fma_f32 v[28:29], v[30:31], v[32:33], v[34:35]
	v_pk_fma_f32 v[30:31], v[30:31], v[32:33], v[36:37] op_sel:[1,0,0] op_sel_hi:[0,1,1] neg_lo:[1,0,0] neg_hi:[1,0,0]
	v_mov_b32_e32 v19, v7
	v_mov_b32_e32 v23, v11
	v_mov_b32_e32 v27, v15
	v_mov_b32_e32 v43, v5
	v_mov_b32_e32 v21, v9
	v_mov_b32_e32 v25, v13
	v_pk_add_f32 v[4:5], v[16:17], v[22:23] neg_lo:[0,1] neg_hi:[0,1]
	v_pk_add_f32 v[6:7], v[18:19], v[26:27] neg_lo:[0,1] neg_hi:[0,1]
	v_mov_b32_e32 v29, v31
	v_pk_add_f32 v[8:9], v[42:43], v[24:25] neg_lo:[0,1] neg_hi:[0,1]
	v_pk_fma_f32 v[10:11], v[16:17], 2.0, v[4:5] op_sel_hi:[1,0,1] neg_lo:[0,0,1] neg_hi:[0,0,1]
	v_pk_fma_f32 v[12:13], v[18:19], 2.0, v[6:7] op_sel_hi:[1,0,1] neg_lo:[0,0,1] neg_hi:[0,0,1]
	v_pk_add_f32 v[16:17], v[20:21], v[28:29] neg_lo:[0,1] neg_hi:[0,1]
	v_pk_add_f32 v[26:27], v[4:5], v[6:7] op_sel:[0,1] op_sel_hi:[1,0]
	v_pk_add_f32 v[6:7], v[4:5], v[6:7] op_sel:[0,1] op_sel_hi:[1,0] neg_lo:[0,1] neg_hi:[0,1]
	v_pk_fma_f32 v[14:15], v[42:43], 2.0, v[8:9] op_sel_hi:[1,0,1] neg_lo:[0,0,1] neg_hi:[0,0,1]
	v_pk_fma_f32 v[18:19], v[20:21], 2.0, v[16:17] op_sel_hi:[1,0,1] neg_lo:[0,0,1] neg_hi:[0,0,1]
	v_mov_b32_e32 v27, v7
	v_pk_add_f32 v[6:7], v[8:9], v[16:17] op_sel:[0,1] op_sel_hi:[1,0]
	v_pk_add_f32 v[16:17], v[8:9], v[16:17] op_sel:[0,1] op_sel_hi:[1,0] neg_lo:[0,1] neg_hi:[0,1]
	v_pk_add_f32 v[12:13], v[10:11], v[12:13] neg_lo:[0,1] neg_hi:[0,1]
	v_pk_add_f32 v[18:19], v[14:15], v[18:19] neg_lo:[0,1] neg_hi:[0,1]
	v_mov_b32_e32 v7, v17
	v_pk_fma_f32 v[10:11], v[10:11], 2.0, v[12:13] op_sel_hi:[1,0,1] neg_lo:[0,0,1] neg_hi:[0,0,1]
	v_pk_fma_f32 v[28:29], v[4:5], 2.0, v[26:27] op_sel_hi:[1,0,1] neg_lo:[0,0,1] neg_hi:[0,0,1]
	;; [unrolled: 1-line block ×4, first 2 shown]
	v_pk_add_f32 v[20:21], v[12:13], v[18:19] op_sel:[0,1] op_sel_hi:[1,0]
	v_pk_add_f32 v[16:17], v[12:13], v[18:19] op_sel:[0,1] op_sel_hi:[1,0] neg_lo:[0,1] neg_hi:[0,1]
	v_pk_mul_f32 v[18:19], v[6:7], s[2:3] op_sel_hi:[1,0]
	v_pk_fma_f32 v[6:7], v[6:7], s[2:3], v[26:27] op_sel_hi:[1,0,1]
	v_pk_add_f32 v[8:9], v[10:11], v[4:5] neg_lo:[0,1] neg_hi:[0,1]
	v_pk_mul_f32 v[30:31], v[14:15], s[2:3] op_sel_hi:[1,0]
	v_pk_fma_f32 v[14:15], v[14:15], s[2:3], v[28:29] op_sel_hi:[1,0,1] neg_lo:[1,0,0] neg_hi:[1,0,0]
	v_pk_add_f32 v[22:23], v[6:7], v[18:19] op_sel:[0,1] op_sel_hi:[1,0]
	v_pk_add_f32 v[18:19], v[6:7], v[18:19] op_sel:[0,1] op_sel_hi:[1,0] neg_lo:[0,1] neg_hi:[0,1]
	v_pk_fma_f32 v[4:5], v[10:11], 2.0, v[8:9] op_sel_hi:[1,0,1] neg_lo:[0,0,1] neg_hi:[0,0,1]
	v_pk_add_f32 v[24:25], v[14:15], v[30:31] op_sel:[0,1] op_sel_hi:[1,0]
	v_pk_add_f32 v[10:11], v[14:15], v[30:31] op_sel:[0,1] op_sel_hi:[1,0] neg_lo:[0,1] neg_hi:[0,1]
	v_mov_b32_e32 v21, v17
	v_mov_b32_e32 v23, v19
	;; [unrolled: 1-line block ×3, first 2 shown]
	s_movk_i32 s2, 0x88
	v_pk_fma_f32 v[12:13], v[12:13], 2.0, v[20:21] op_sel_hi:[1,0,1] neg_lo:[0,0,1] neg_hi:[0,0,1]
	v_pk_fma_f32 v[14:15], v[26:27], 2.0, v[22:23] op_sel_hi:[1,0,1] neg_lo:[0,0,1] neg_hi:[0,0,1]
	;; [unrolled: 1-line block ×3, first 2 shown]
	v_cmp_gt_u32_e32 vcc, s2, v36
	ds_write2_b64 v56, v[4:5], v[6:7] offset1:17
	ds_write2_b64 v56, v[12:13], v[14:15] offset0:34 offset1:51
	ds_write2_b64 v56, v[8:9], v[24:25] offset0:68 offset1:85
	;; [unrolled: 1-line block ×3, first 2 shown]
	s_waitcnt lgkmcnt(0)
	s_barrier
	s_and_saveexec_b64 s[2:3], vcc
	s_cbranch_execz .LBB0_21
; %bb.20:
	v_add_u32_e32 v0, 0x800, v180
	ds_read2_b64 v[12:15], v0 offset0:16 offset1:152
	v_add_u32_e32 v0, 0x1000, v180
	ds_read2_b64 v[8:11], v0 offset0:32 offset1:168
	;; [unrolled: 2-line block ×3, first 2 shown]
	v_add_u32_e32 v0, 0x2000, v180
	ds_read2_b64 v[4:7], v180 offset1:136
	ds_read2_b64 v[0:3], v0 offset0:64 offset1:200
	ds_read_b64 v[40:41], v180 offset:10880
	s_waitcnt lgkmcnt(4)
	v_mov_b32_e32 v24, v10
	s_waitcnt lgkmcnt(3)
	v_mov_b32_e32 v22, v18
	v_mov_b32_e32 v20, v16
.LBB0_21:
	s_or_b64 exec, exec, s[2:3]
	s_waitcnt lgkmcnt(0)
	s_barrier
	s_and_saveexec_b64 s[2:3], vcc
	s_cbranch_execz .LBB0_23
; %bb.22:
	v_add_u32_e32 v10, 0xffffff78, v36
	v_cndmask_b32_e32 v10, v10, v36, vcc
	v_mul_i32_i24_e32 v26, 10, v10
	v_mov_b32_e32 v27, 0
	v_lshl_add_u64 v[34:35], v[26:27], 3, s[4:5]
	global_load_dwordx4 v[26:29], v[34:35], off offset:952
	global_load_dwordx4 v[30:33], v[34:35], off offset:1016
	;; [unrolled: 1-line block ×5, first 2 shown]
	v_mov_b32_e32 v10, v7
	v_mov_b32_e32 v16, v13
	;; [unrolled: 1-line block ×7, first 2 shown]
	s_mov_b32 s14, 0xbf0a6770
	s_mov_b32 s4, 0x3f575c64
	;; [unrolled: 1-line block ×12, first 2 shown]
	s_waitcnt vmcnt(4)
	v_pk_mul_f32 v[10:11], v[10:11], v[26:27] op_sel_hi:[0,1]
	s_waitcnt vmcnt(3)
	v_pk_mul_f32 v[60:61], v[40:41], v[32:33] op_sel:[1,0]
	v_pk_mul_f32 v[16:17], v[16:17], v[28:29] op_sel_hi:[0,1]
	v_pk_mul_f32 v[62:63], v[2:3], v[30:31] op_sel:[1,0]
	s_waitcnt vmcnt(2)
	v_pk_mul_f32 v[18:19], v[18:19], v[42:43] op_sel_hi:[0,1]
	s_waitcnt vmcnt(1)
	v_pk_mul_f32 v[54:55], v[54:55], v[46:47] op_sel_hi:[0,1]
	v_pk_mul_f32 v[64:65], v[0:1], v[48:49] op_sel:[1,0]
	v_pk_fma_f32 v[66:67], v[40:41], v[32:33], v[60:61] op_sel:[0,0,1] op_sel_hi:[1,1,0]
	v_pk_fma_f32 v[32:33], v[40:41], v[32:33], v[60:61] op_sel:[0,0,1] op_sel_hi:[0,1,0] neg_lo:[1,0,0] neg_hi:[1,0,0]
	v_pk_fma_f32 v[40:41], v[2:3], v[30:31], v[62:63] op_sel:[0,0,1] op_sel_hi:[1,1,0]
	v_pk_fma_f32 v[2:3], v[2:3], v[30:31], v[62:63] op_sel:[0,0,1] op_sel_hi:[0,1,0] neg_lo:[1,0,0] neg_hi:[1,0,0]
	;; [unrolled: 2-line block ×7, first 2 shown]
	v_mov_b32_e32 v67, v33
	v_mov_b32_e32 v47, v7
	v_pk_mul_f32 v[34:35], v[34:35], v[44:45] op_sel_hi:[0,1]
	v_mov_b32_e32 v41, v3
	v_mov_b32_e32 v31, v13
	;; [unrolled: 1-line block ×3, first 2 shown]
	v_pk_add_f32 v[0:1], v[46:47], v[66:67] neg_lo:[0,1] neg_hi:[0,1]
	s_waitcnt vmcnt(0)
	v_pk_mul_f32 v[58:59], v[58:59], v[52:53] op_sel_hi:[0,1]
	v_pk_fma_f32 v[42:43], v[8:9], v[44:45], v[34:35] op_sel:[0,0,1] op_sel_hi:[1,1,0]
	v_pk_fma_f32 v[8:9], v[8:9], v[44:45], v[34:35] op_sel:[0,0,1] op_sel_hi:[0,1,0] neg_lo:[1,0,0] neg_hi:[1,0,0]
	v_mov_b32_e32 v29, v15
	v_pk_add_f32 v[2:3], v[46:47], v[66:67]
	v_pk_add_f32 v[6:7], v[30:31], v[40:41] neg_lo:[0,1] neg_hi:[0,1]
	v_pk_mul_f32 v[26:27], v[0:1], s[14:15] op_sel_hi:[1,0]
	v_pk_add_f32 v[46:47], v[4:5], v[46:47]
	v_pk_mul_f32 v[56:57], v[56:57], v[50:51] op_sel_hi:[0,1]
	v_pk_fma_f32 v[34:35], v[20:21], v[52:53], v[58:59] op_sel:[0,0,1] op_sel_hi:[1,1,0]
	v_pk_fma_f32 v[20:21], v[20:21], v[52:53], v[58:59] op_sel:[0,0,1] op_sel_hi:[0,1,0] neg_lo:[1,0,0] neg_hi:[1,0,0]
	v_mov_b32_e32 v19, v23
	v_mov_b32_e32 v43, v9
	v_pk_add_f32 v[8:9], v[30:31], v[40:41]
	v_pk_add_f32 v[10:11], v[28:29], v[16:17] neg_lo:[0,1] neg_hi:[0,1]
	v_pk_mul_f32 v[32:33], v[6:7], s[22:23] op_sel_hi:[1,0]
	v_pk_fma_f32 v[52:53], v[2:3], s[4:5], v[26:27] op_sel:[0,0,1] op_sel_hi:[1,0,0]
	v_pk_fma_f32 v[26:27], v[2:3], s[4:5], v[26:27] op_sel:[0,0,1] op_sel_hi:[1,0,0] neg_lo:[0,0,1] neg_hi:[0,0,1]
	v_pk_add_f32 v[30:31], v[46:47], v[30:31]
	v_pk_fma_f32 v[44:45], v[24:25], v[50:51], v[56:57] op_sel:[0,0,1] op_sel_hi:[1,1,0]
	v_pk_fma_f32 v[24:25], v[24:25], v[50:51], v[56:57] op_sel:[0,0,1] op_sel_hi:[0,1,0] neg_lo:[1,0,0] neg_hi:[1,0,0]
	v_pk_add_f32 v[12:13], v[28:29], v[16:17]
	v_pk_add_f32 v[14:15], v[42:43], v[18:19] neg_lo:[0,1] neg_hi:[0,1]
	v_pk_mul_f32 v[48:49], v[10:11], s[12:13] op_sel_hi:[1,0]
	v_pk_fma_f32 v[54:55], v[8:9], s[6:7], v[32:33] op_sel:[0,0,1] op_sel_hi:[1,0,0]
	v_pk_fma_f32 v[32:33], v[8:9], s[6:7], v[32:33] op_sel:[0,0,1] op_sel_hi:[1,0,0] neg_lo:[0,0,1] neg_hi:[0,0,1]
	v_mov_b32_e32 v58, v52
	v_mov_b32_e32 v59, v27
	v_pk_add_f32 v[28:29], v[30:31], v[28:29]
	v_mov_b32_e32 v35, v21
	v_mov_b32_e32 v45, v25
	v_pk_add_f32 v[20:21], v[42:43], v[18:19]
	v_pk_mul_f32 v[50:51], v[14:15], s[16:17] op_sel_hi:[1,0]
	v_pk_fma_f32 v[56:57], v[12:13], s[8:9], v[48:49] op_sel:[0,0,1] op_sel_hi:[1,0,0]
	v_pk_fma_f32 v[48:49], v[12:13], s[8:9], v[48:49] op_sel:[0,0,1] op_sel_hi:[1,0,0] neg_lo:[0,0,1] neg_hi:[0,0,1]
	v_mov_b32_e32 v60, v54
	v_mov_b32_e32 v61, v33
	v_pk_add_f32 v[58:59], v[4:5], v[58:59]
	v_pk_add_f32 v[28:29], v[28:29], v[42:43]
	v_mov_b32_e32 v62, v56
	v_mov_b32_e32 v63, v49
	v_pk_add_f32 v[58:59], v[60:61], v[58:59]
	v_pk_fma_f32 v[60:61], v[20:21], s[10:11], v[50:51] op_sel:[0,0,1] op_sel_hi:[1,0,0]
	v_pk_fma_f32 v[50:51], v[20:21], s[10:11], v[50:51] op_sel:[0,0,1] op_sel_hi:[1,0,0] neg_lo:[0,0,1] neg_hi:[0,0,1]
	v_pk_add_f32 v[28:29], v[28:29], v[44:45]
	v_pk_add_f32 v[22:23], v[44:45], v[34:35] neg_lo:[0,1] neg_hi:[0,1]
	v_pk_add_f32 v[58:59], v[62:63], v[58:59]
	v_mov_b32_e32 v62, v60
	v_mov_b32_e32 v63, v51
	v_pk_add_f32 v[28:29], v[28:29], v[34:35]
	v_pk_add_f32 v[24:25], v[44:45], v[34:35]
	;; [unrolled: 1-line block ×3, first 2 shown]
	v_pk_mul_f32 v[62:63], v[22:23], s[20:21] op_sel_hi:[1,0]
	v_pk_add_f32 v[18:19], v[28:29], v[18:19]
	v_pk_fma_f32 v[64:65], v[24:25], s[18:19], v[62:63] op_sel:[0,0,1] op_sel_hi:[1,0,0]
	v_pk_fma_f32 v[62:63], v[24:25], s[18:19], v[62:63] op_sel:[0,0,1] op_sel_hi:[1,0,0] neg_lo:[0,0,1] neg_hi:[0,0,1]
	v_pk_add_f32 v[16:17], v[18:19], v[16:17]
	v_mov_b32_e32 v68, v64
	v_mov_b32_e32 v69, v63
	v_pk_add_f32 v[16:17], v[16:17], v[40:41]
	v_pk_add_f32 v[58:59], v[68:69], v[58:59]
	;; [unrolled: 1-line block ×3, first 2 shown]
	ds_write2_b64 v180, v[16:17], v[58:59] offset1:136
	v_pk_mul_f32 v[16:17], v[0:1], s[22:23] op_sel_hi:[1,0]
	v_pk_mul_f32 v[30:31], v[6:7], s[16:17] op_sel_hi:[1,0]
	v_pk_fma_f32 v[18:19], v[2:3], s[6:7], v[16:17] op_sel:[0,0,1] op_sel_hi:[1,0,0]
	v_pk_fma_f32 v[16:17], v[2:3], s[6:7], v[16:17] op_sel:[0,0,1] op_sel_hi:[1,0,0] neg_lo:[0,0,1] neg_hi:[0,0,1]
	v_mov_b32_e32 v28, v18
	v_mov_b32_e32 v29, v17
	v_pk_fma_f32 v[34:35], v[8:9], s[10:11], v[30:31] op_sel:[0,0,1] op_sel_hi:[1,0,0]
	v_pk_fma_f32 v[30:31], v[8:9], s[10:11], v[30:31] op_sel:[0,0,1] op_sel_hi:[1,0,0] neg_lo:[0,0,1] neg_hi:[0,0,1]
	v_pk_add_f32 v[28:29], v[4:5], v[28:29]
	v_mov_b32_e32 v40, v34
	v_mov_b32_e32 v41, v31
	s_mov_b32 s22, 0x3e903f40
	v_pk_add_f32 v[28:29], v[40:41], v[28:29]
	v_pk_mul_f32 v[40:41], v[10:11], s[22:23] op_sel_hi:[1,0]
	v_pk_mul_f32 v[70:71], v[6:7], s[22:23] op_sel_hi:[1,0]
	v_pk_fma_f32 v[42:43], v[12:13], s[18:19], v[40:41] op_sel:[0,0,1] op_sel_hi:[1,0,0]
	v_pk_fma_f32 v[40:41], v[12:13], s[18:19], v[40:41] op_sel:[0,0,1] op_sel_hi:[1,0,0] neg_lo:[0,0,1] neg_hi:[0,0,1]
	v_mov_b32_e32 v44, v42
	v_mov_b32_e32 v45, v41
	v_pk_add_f32 v[28:29], v[44:45], v[28:29]
	v_pk_mul_f32 v[44:45], v[14:15], s[24:25] op_sel_hi:[1,0]
	s_mov_b32 s22, 0x3f68dda4
	v_pk_fma_f32 v[46:47], v[20:21], s[8:9], v[44:45] op_sel:[0,0,1] op_sel_hi:[1,0,0]
	v_pk_fma_f32 v[44:45], v[20:21], s[8:9], v[44:45] op_sel:[0,0,1] op_sel_hi:[1,0,0] neg_lo:[0,0,1] neg_hi:[0,0,1]
	v_mov_b32_e32 v58, v46
	v_mov_b32_e32 v59, v45
	v_pk_add_f32 v[28:29], v[58:59], v[28:29]
	v_pk_mul_f32 v[58:59], v[22:23], s[26:27] op_sel_hi:[1,0]
	v_pk_fma_f32 v[82:83], v[8:9], s[18:19], v[70:71] op_sel:[0,0,1] op_sel_hi:[1,0,0]
	v_pk_fma_f32 v[66:67], v[24:25], s[4:5], v[58:59] op_sel:[0,0,1] op_sel_hi:[1,0,0]
	v_pk_fma_f32 v[58:59], v[24:25], s[4:5], v[58:59] op_sel:[0,0,1] op_sel_hi:[1,0,0] neg_lo:[0,0,1] neg_hi:[0,0,1]
	v_mov_b32_e32 v68, v66
	v_mov_b32_e32 v69, v59
	v_pk_add_f32 v[28:29], v[68:69], v[28:29]
	v_pk_mul_f32 v[68:69], v[0:1], s[12:13] op_sel_hi:[1,0]
	v_pk_fma_f32 v[70:71], v[8:9], s[18:19], v[70:71] op_sel:[0,0,1] op_sel_hi:[1,0,0] neg_lo:[0,0,1] neg_hi:[0,0,1]
	v_pk_fma_f32 v[78:79], v[2:3], s[8:9], v[68:69] op_sel:[0,0,1] op_sel_hi:[1,0,0]
	v_pk_fma_f32 v[68:69], v[2:3], s[8:9], v[68:69] op_sel:[0,0,1] op_sel_hi:[1,0,0] neg_lo:[0,0,1] neg_hi:[0,0,1]
	v_mov_b32_e32 v80, v78
	v_mov_b32_e32 v81, v69
	v_pk_mul_f32 v[72:73], v[10:11], s[22:23] op_sel_hi:[1,0]
	v_pk_add_f32 v[80:81], v[4:5], v[80:81]
	v_mov_b32_e32 v84, v82
	v_mov_b32_e32 v85, v71
	v_pk_add_f32 v[80:81], v[84:85], v[80:81]
	v_pk_fma_f32 v[84:85], v[12:13], s[6:7], v[72:73] op_sel:[0,0,1] op_sel_hi:[1,0,0]
	v_pk_fma_f32 v[72:73], v[12:13], s[6:7], v[72:73] op_sel:[0,0,1] op_sel_hi:[1,0,0] neg_lo:[0,0,1] neg_hi:[0,0,1]
	v_pk_mul_f32 v[74:75], v[14:15], s[14:15] op_sel_hi:[1,0]
	v_mov_b32_e32 v86, v84
	v_mov_b32_e32 v87, v73
	v_pk_add_f32 v[80:81], v[86:87], v[80:81]
	v_pk_fma_f32 v[86:87], v[20:21], s[4:5], v[74:75] op_sel:[0,0,1] op_sel_hi:[1,0,0]
	v_pk_fma_f32 v[74:75], v[20:21], s[4:5], v[74:75] op_sel:[0,0,1] op_sel_hi:[1,0,0] neg_lo:[0,0,1] neg_hi:[0,0,1]
	v_pk_mul_f32 v[76:77], v[22:23], s[16:17] op_sel_hi:[1,0]
	v_mov_b32_e32 v88, v86
	v_mov_b32_e32 v89, v75
	v_pk_add_f32 v[80:81], v[88:89], v[80:81]
	v_pk_fma_f32 v[88:89], v[24:25], s[10:11], v[76:77] op_sel:[0,0,1] op_sel_hi:[1,0,0]
	v_pk_fma_f32 v[76:77], v[24:25], s[10:11], v[76:77] op_sel:[0,0,1] op_sel_hi:[1,0,0] neg_lo:[0,0,1] neg_hi:[0,0,1]
	v_mov_b32_e32 v90, v88
	v_mov_b32_e32 v91, v77
	v_pk_add_f32 v[80:81], v[90:91], v[80:81]
	v_add_u32_e32 v17, 0x800, v180
	ds_write2_b64 v17, v[28:29], v[80:81] offset0:16 offset1:152
	v_pk_mul_f32 v[28:29], v[0:1], s[16:17] op_sel_hi:[1,0]
	v_pk_mul_f32 v[80:81], v[6:7], s[24:25] op_sel_hi:[1,0]
	v_pk_fma_f32 v[96:97], v[2:3], s[10:11], v[28:29] op_sel:[0,0,1] op_sel_hi:[1,0,0]
	v_pk_fma_f32 v[28:29], v[2:3], s[10:11], v[28:29] op_sel:[0,0,1] op_sel_hi:[1,0,0] neg_lo:[0,0,1] neg_hi:[0,0,1]
	v_mov_b32_e32 v98, v96
	v_mov_b32_e32 v99, v29
	v_pk_fma_f32 v[100:101], v[8:9], s[8:9], v[80:81] op_sel:[0,0,1] op_sel_hi:[1,0,0]
	v_pk_fma_f32 v[80:81], v[8:9], s[8:9], v[80:81] op_sel:[0,0,1] op_sel_hi:[1,0,0] neg_lo:[0,0,1] neg_hi:[0,0,1]
	v_pk_mul_f32 v[90:91], v[10:11], s[14:15] op_sel_hi:[1,0]
	v_pk_add_f32 v[98:99], v[4:5], v[98:99]
	v_mov_b32_e32 v102, v100
	v_mov_b32_e32 v103, v81
	v_pk_add_f32 v[98:99], v[102:103], v[98:99]
	v_pk_fma_f32 v[102:103], v[12:13], s[4:5], v[90:91] op_sel:[0,0,1] op_sel_hi:[1,0,0]
	v_pk_fma_f32 v[90:91], v[12:13], s[4:5], v[90:91] op_sel:[0,0,1] op_sel_hi:[1,0,0] neg_lo:[0,0,1] neg_hi:[0,0,1]
	v_pk_mul_f32 v[92:93], v[14:15], s[20:21] op_sel_hi:[1,0]
	v_mov_b32_e32 v104, v102
	v_mov_b32_e32 v105, v91
	v_pk_add_f32 v[98:99], v[104:105], v[98:99]
	v_pk_fma_f32 v[104:105], v[20:21], s[18:19], v[92:93] op_sel:[0,0,1] op_sel_hi:[1,0,0]
	v_pk_fma_f32 v[92:93], v[20:21], s[18:19], v[92:93] op_sel:[0,0,1] op_sel_hi:[1,0,0] neg_lo:[0,0,1] neg_hi:[0,0,1]
	v_pk_mul_f32 v[94:95], v[22:23], s[22:23] op_sel_hi:[1,0]
	v_mov_b32_e32 v106, v104
	v_mov_b32_e32 v107, v93
	v_pk_add_f32 v[98:99], v[106:107], v[98:99]
	v_pk_fma_f32 v[106:107], v[24:25], s[6:7], v[94:95] op_sel:[0,0,1] op_sel_hi:[1,0,0]
	v_pk_fma_f32 v[94:95], v[24:25], s[6:7], v[94:95] op_sel:[0,0,1] op_sel_hi:[1,0,0] neg_lo:[0,0,1] neg_hi:[0,0,1]
	v_mov_b32_e32 v108, v106
	v_mov_b32_e32 v109, v95
	v_pk_mul_f32 v[0:1], v[0:1], s[20:21] op_sel_hi:[1,0]
	v_pk_add_f32 v[98:99], v[108:109], v[98:99]
	v_pk_mul_f32 v[6:7], v[6:7], s[26:27] op_sel_hi:[1,0]
	v_pk_fma_f32 v[108:109], v[2:3], s[18:19], v[0:1] op_sel:[0,0,1] op_sel_hi:[1,0,0]
	v_pk_fma_f32 v[0:1], v[2:3], s[18:19], v[0:1] op_sel:[0,0,1] op_sel_hi:[1,0,0] neg_lo:[0,0,1] neg_hi:[0,0,1]
	v_mov_b32_e32 v2, v108
	v_mov_b32_e32 v3, v1
	v_pk_fma_f32 v[110:111], v[8:9], s[4:5], v[6:7] op_sel:[0,0,1] op_sel_hi:[1,0,0]
	v_pk_fma_f32 v[6:7], v[8:9], s[4:5], v[6:7] op_sel:[0,0,1] op_sel_hi:[1,0,0] neg_lo:[0,0,1] neg_hi:[0,0,1]
	v_pk_mul_f32 v[10:11], v[10:11], s[16:17] op_sel_hi:[1,0]
	v_pk_add_f32 v[2:3], v[4:5], v[2:3]
	v_mov_b32_e32 v8, v110
	v_mov_b32_e32 v9, v7
	v_pk_add_f32 v[2:3], v[8:9], v[2:3]
	v_pk_fma_f32 v[8:9], v[12:13], s[10:11], v[10:11] op_sel:[0,0,1] op_sel_hi:[1,0,0]
	v_pk_fma_f32 v[10:11], v[12:13], s[10:11], v[10:11] op_sel:[0,0,1] op_sel_hi:[1,0,0] neg_lo:[0,0,1] neg_hi:[0,0,1]
	v_pk_mul_f32 v[14:15], v[14:15], s[22:23] op_sel_hi:[1,0]
	v_mov_b32_e32 v12, v8
	v_mov_b32_e32 v13, v11
	v_pk_add_f32 v[2:3], v[12:13], v[2:3]
	v_pk_fma_f32 v[12:13], v[20:21], s[6:7], v[14:15] op_sel:[0,0,1] op_sel_hi:[1,0,0]
	v_pk_fma_f32 v[14:15], v[20:21], s[6:7], v[14:15] op_sel:[0,0,1] op_sel_hi:[1,0,0] neg_lo:[0,0,1] neg_hi:[0,0,1]
	v_pk_mul_f32 v[22:23], v[22:23], s[12:13] op_sel_hi:[1,0]
	v_mov_b32_e32 v20, v12
	v_mov_b32_e32 v21, v15
	v_pk_add_f32 v[2:3], v[20:21], v[2:3]
	v_pk_fma_f32 v[20:21], v[24:25], s[8:9], v[22:23] op_sel:[0,0,1] op_sel_hi:[1,0,0]
	v_pk_fma_f32 v[22:23], v[24:25], s[8:9], v[22:23] op_sel:[0,0,1] op_sel_hi:[1,0,0] neg_lo:[0,0,1] neg_hi:[0,0,1]
	v_mov_b32_e32 v24, v20
	v_mov_b32_e32 v25, v23
	v_pk_add_f32 v[2:3], v[24:25], v[2:3]
	v_add_u32_e32 v1, 0x1000, v180
	ds_write2_b64 v1, v[98:99], v[2:3] offset0:32 offset1:168
	v_mov_b32_e32 v1, v109
	v_mov_b32_e32 v29, v97
	v_pk_add_f32 v[0:1], v[4:5], v[0:1]
	v_mov_b32_e32 v7, v111
	v_pk_add_f32 v[2:3], v[4:5], v[28:29]
	;; [unrolled: 2-line block ×9, first 2 shown]
	v_pk_add_f32 v[2:3], v[94:95], v[2:3]
	v_add_u32_e32 v6, 0x1800, v180
	v_mov_b32_e32 v69, v79
	v_mov_b32_e32 v17, v19
	ds_write2_b64 v6, v[0:1], v[2:3] offset0:48 offset1:184
	v_pk_add_f32 v[0:1], v[4:5], v[68:69]
	v_mov_b32_e32 v71, v83
	v_pk_add_f32 v[2:3], v[4:5], v[16:17]
	v_mov_b32_e32 v31, v35
	;; [unrolled: 2-line block ×8, first 2 shown]
	v_pk_add_f32 v[0:1], v[76:77], v[0:1]
	v_pk_add_f32 v[2:3], v[58:59], v[2:3]
	v_add_u32_e32 v6, 0x2000, v180
	v_mov_b32_e32 v27, v53
	ds_write2_b64 v6, v[0:1], v[2:3] offset0:64 offset1:200
	v_pk_add_f32 v[0:1], v[4:5], v[26:27]
	v_mov_b32_e32 v33, v55
	v_pk_add_f32 v[0:1], v[32:33], v[0:1]
	v_mov_b32_e32 v49, v57
	;; [unrolled: 2-line block ×4, first 2 shown]
	v_pk_add_f32 v[0:1], v[62:63], v[0:1]
	ds_write_b64 v180, v[0:1] offset:10880
.LBB0_23:
	s_or_b64 exec, exec, s[2:3]
	s_waitcnt lgkmcnt(0)
	s_barrier
	s_and_saveexec_b64 s[2:3], s[0:1]
	s_cbranch_execz .LBB0_25
; %bb.24:
	v_lshl_add_u32 v8, v36, 3, 0
	ds_read2_b64 v[0:3], v8 offset1:187
	v_mov_b32_e32 v37, 0
	v_add_u32_e32 v4, 0xbb, v36
	v_lshl_add_u64 v[6:7], v[36:37], 3, v[38:39]
	v_mov_b32_e32 v5, v37
	s_waitcnt lgkmcnt(0)
	global_store_dwordx2 v[6:7], v[0:1], off
	v_lshl_add_u64 v[0:1], v[4:5], 3, v[38:39]
	v_add_u32_e32 v4, 0xa00, v8
	ds_read2_b64 v[4:7], v4 offset0:54 offset1:241
	global_store_dwordx2 v[0:1], v[2:3], off
	v_add_u32_e32 v0, 0x176, v36
	v_mov_b32_e32 v1, v37
	v_lshl_add_u64 v[0:1], v[0:1], 3, v[38:39]
	s_waitcnt lgkmcnt(0)
	global_store_dwordx2 v[0:1], v[4:5], off
	v_add_u32_e32 v0, 0x231, v36
	v_mov_b32_e32 v1, v37
	v_lshl_add_u64 v[4:5], v[0:1], 3, v[38:39]
	v_add_u32_e32 v0, 0x1600, v8
	ds_read2_b64 v[0:3], v0 offset0:44 offset1:231
	global_store_dwordx2 v[4:5], v[6:7], off
	v_add_u32_e32 v4, 0x2ec, v36
	v_mov_b32_e32 v5, v37
	v_lshl_add_u64 v[4:5], v[4:5], 3, v[38:39]
	s_waitcnt lgkmcnt(0)
	global_store_dwordx2 v[4:5], v[0:1], off
	v_add_u32_e32 v4, 0x2200, v8
	ds_read2_b64 v[4:7], v4 offset0:34 offset1:221
	v_add_u32_e32 v0, 0x3a7, v36
	v_mov_b32_e32 v1, v37
	v_lshl_add_u64 v[0:1], v[0:1], 3, v[38:39]
	global_store_dwordx2 v[0:1], v[2:3], off
	v_add_u32_e32 v0, 0x462, v36
	v_mov_b32_e32 v1, v37
	v_lshl_add_u64 v[0:1], v[0:1], 3, v[38:39]
	v_add_u32_e32 v36, 0x51d, v36
	s_waitcnt lgkmcnt(0)
	global_store_dwordx2 v[0:1], v[4:5], off
	v_lshl_add_u64 v[0:1], v[36:37], 3, v[38:39]
	global_store_dwordx2 v[0:1], v[6:7], off
.LBB0_25:
	s_endpgm
	.section	.rodata,"a",@progbits
	.p2align	6, 0x0
	.amdhsa_kernel fft_rtc_back_len1496_factors_17_8_11_wgs_187_tpt_187_halfLds_sp_ip_CI_unitstride_sbrr_C2R_dirReg
		.amdhsa_group_segment_fixed_size 0
		.amdhsa_private_segment_fixed_size 0
		.amdhsa_kernarg_size 88
		.amdhsa_user_sgpr_count 2
		.amdhsa_user_sgpr_dispatch_ptr 0
		.amdhsa_user_sgpr_queue_ptr 0
		.amdhsa_user_sgpr_kernarg_segment_ptr 1
		.amdhsa_user_sgpr_dispatch_id 0
		.amdhsa_user_sgpr_kernarg_preload_length 0
		.amdhsa_user_sgpr_kernarg_preload_offset 0
		.amdhsa_user_sgpr_private_segment_size 0
		.amdhsa_uses_dynamic_stack 0
		.amdhsa_enable_private_segment 0
		.amdhsa_system_sgpr_workgroup_id_x 1
		.amdhsa_system_sgpr_workgroup_id_y 0
		.amdhsa_system_sgpr_workgroup_id_z 0
		.amdhsa_system_sgpr_workgroup_info 0
		.amdhsa_system_vgpr_workitem_id 0
		.amdhsa_next_free_vgpr 244
		.amdhsa_next_free_sgpr 56
		.amdhsa_accum_offset 244
		.amdhsa_reserve_vcc 1
		.amdhsa_float_round_mode_32 0
		.amdhsa_float_round_mode_16_64 0
		.amdhsa_float_denorm_mode_32 3
		.amdhsa_float_denorm_mode_16_64 3
		.amdhsa_dx10_clamp 1
		.amdhsa_ieee_mode 1
		.amdhsa_fp16_overflow 0
		.amdhsa_tg_split 0
		.amdhsa_exception_fp_ieee_invalid_op 0
		.amdhsa_exception_fp_denorm_src 0
		.amdhsa_exception_fp_ieee_div_zero 0
		.amdhsa_exception_fp_ieee_overflow 0
		.amdhsa_exception_fp_ieee_underflow 0
		.amdhsa_exception_fp_ieee_inexact 0
		.amdhsa_exception_int_div_zero 0
	.end_amdhsa_kernel
	.text
.Lfunc_end0:
	.size	fft_rtc_back_len1496_factors_17_8_11_wgs_187_tpt_187_halfLds_sp_ip_CI_unitstride_sbrr_C2R_dirReg, .Lfunc_end0-fft_rtc_back_len1496_factors_17_8_11_wgs_187_tpt_187_halfLds_sp_ip_CI_unitstride_sbrr_C2R_dirReg
                                        ; -- End function
	.section	.AMDGPU.csdata,"",@progbits
; Kernel info:
; codeLenInByte = 9476
; NumSgprs: 62
; NumVgprs: 244
; NumAgprs: 0
; TotalNumVgprs: 244
; ScratchSize: 0
; MemoryBound: 0
; FloatMode: 240
; IeeeMode: 1
; LDSByteSize: 0 bytes/workgroup (compile time only)
; SGPRBlocks: 7
; VGPRBlocks: 30
; NumSGPRsForWavesPerEU: 62
; NumVGPRsForWavesPerEU: 244
; AccumOffset: 244
; Occupancy: 2
; WaveLimiterHint : 1
; COMPUTE_PGM_RSRC2:SCRATCH_EN: 0
; COMPUTE_PGM_RSRC2:USER_SGPR: 2
; COMPUTE_PGM_RSRC2:TRAP_HANDLER: 0
; COMPUTE_PGM_RSRC2:TGID_X_EN: 1
; COMPUTE_PGM_RSRC2:TGID_Y_EN: 0
; COMPUTE_PGM_RSRC2:TGID_Z_EN: 0
; COMPUTE_PGM_RSRC2:TIDIG_COMP_CNT: 0
; COMPUTE_PGM_RSRC3_GFX90A:ACCUM_OFFSET: 60
; COMPUTE_PGM_RSRC3_GFX90A:TG_SPLIT: 0
	.text
	.p2alignl 6, 3212836864
	.fill 256, 4, 3212836864
	.type	__hip_cuid_2a23d604a583b86b,@object ; @__hip_cuid_2a23d604a583b86b
	.section	.bss,"aw",@nobits
	.globl	__hip_cuid_2a23d604a583b86b
__hip_cuid_2a23d604a583b86b:
	.byte	0                               ; 0x0
	.size	__hip_cuid_2a23d604a583b86b, 1

	.ident	"AMD clang version 19.0.0git (https://github.com/RadeonOpenCompute/llvm-project roc-6.4.0 25133 c7fe45cf4b819c5991fe208aaa96edf142730f1d)"
	.section	".note.GNU-stack","",@progbits
	.addrsig
	.addrsig_sym __hip_cuid_2a23d604a583b86b
	.amdgpu_metadata
---
amdhsa.kernels:
  - .agpr_count:     0
    .args:
      - .actual_access:  read_only
        .address_space:  global
        .offset:         0
        .size:           8
        .value_kind:     global_buffer
      - .offset:         8
        .size:           8
        .value_kind:     by_value
      - .actual_access:  read_only
        .address_space:  global
        .offset:         16
        .size:           8
        .value_kind:     global_buffer
      - .actual_access:  read_only
        .address_space:  global
        .offset:         24
        .size:           8
        .value_kind:     global_buffer
      - .offset:         32
        .size:           8
        .value_kind:     by_value
      - .actual_access:  read_only
        .address_space:  global
        .offset:         40
        .size:           8
        .value_kind:     global_buffer
      - .actual_access:  read_only
        .address_space:  global
        .offset:         48
        .size:           8
        .value_kind:     global_buffer
      - .offset:         56
        .size:           4
        .value_kind:     by_value
      - .actual_access:  read_only
        .address_space:  global
        .offset:         64
        .size:           8
        .value_kind:     global_buffer
      - .actual_access:  read_only
        .address_space:  global
        .offset:         72
        .size:           8
        .value_kind:     global_buffer
      - .address_space:  global
        .offset:         80
        .size:           8
        .value_kind:     global_buffer
    .group_segment_fixed_size: 0
    .kernarg_segment_align: 8
    .kernarg_segment_size: 88
    .language:       OpenCL C
    .language_version:
      - 2
      - 0
    .max_flat_workgroup_size: 187
    .name:           fft_rtc_back_len1496_factors_17_8_11_wgs_187_tpt_187_halfLds_sp_ip_CI_unitstride_sbrr_C2R_dirReg
    .private_segment_fixed_size: 0
    .sgpr_count:     62
    .sgpr_spill_count: 0
    .symbol:         fft_rtc_back_len1496_factors_17_8_11_wgs_187_tpt_187_halfLds_sp_ip_CI_unitstride_sbrr_C2R_dirReg.kd
    .uniform_work_group_size: 1
    .uses_dynamic_stack: false
    .vgpr_count:     244
    .vgpr_spill_count: 0
    .wavefront_size: 64
amdhsa.target:   amdgcn-amd-amdhsa--gfx950
amdhsa.version:
  - 1
  - 2
...

	.end_amdgpu_metadata
